;; amdgpu-corpus repo=ROCm/rocFFT kind=compiled arch=gfx906 opt=O3
	.text
	.amdgcn_target "amdgcn-amd-amdhsa--gfx906"
	.amdhsa_code_object_version 6
	.protected	bluestein_single_fwd_len4000_dim1_dp_op_CI_CI ; -- Begin function bluestein_single_fwd_len4000_dim1_dp_op_CI_CI
	.globl	bluestein_single_fwd_len4000_dim1_dp_op_CI_CI
	.p2align	8
	.type	bluestein_single_fwd_len4000_dim1_dp_op_CI_CI,@function
bluestein_single_fwd_len4000_dim1_dp_op_CI_CI: ; @bluestein_single_fwd_len4000_dim1_dp_op_CI_CI
; %bb.0:
	s_mov_b64 s[38:39], s[2:3]
	s_mov_b64 s[36:37], s[0:1]
	s_load_dwordx4 s[0:3], s[4:5], 0x28
	v_mul_u32_u24_e32 v1, 0x148, v0
	v_add_u32_sdwa v2, s6, v1 dst_sel:DWORD dst_unused:UNUSED_PAD src0_sel:DWORD src1_sel:WORD_1
	v_mov_b32_e32 v3, 0
	s_add_u32 s36, s36, s7
	s_waitcnt lgkmcnt(0)
	v_cmp_gt_u64_e32 vcc, s[0:1], v[2:3]
	s_addc_u32 s37, s37, 0
	s_and_saveexec_b64 s[0:1], vcc
	s_cbranch_execz .LBB0_2
; %bb.1:
	s_load_dwordx4 s[12:15], s[4:5], 0x18
	s_load_dwordx4 s[8:11], s[4:5], 0x0
	v_mov_b32_e32 v4, v2
	s_movk_i32 s25, 0x3000
	s_movk_i32 s26, 0x6000
	s_waitcnt lgkmcnt(0)
	s_load_dwordx4 s[16:19], s[12:13], 0x0
	buffer_store_dword v4, off, s[36:39], 0 offset:320 ; 4-byte Folded Spill
	s_nop 0
	buffer_store_dword v5, off, s[36:39], 0 offset:324 ; 4-byte Folded Spill
	s_movk_i32 s12, 0xc8
	v_mul_lo_u16_sdwa v1, v1, s12 dst_sel:DWORD dst_unused:UNUSED_PAD src0_sel:WORD_1 src1_sel:DWORD
	v_sub_u16_e32 v117, v0, v1
	s_waitcnt lgkmcnt(0)
	v_mad_u64_u32 v[0:1], s[0:1], s18, v2, 0
	v_mad_u64_u32 v[2:3], s[0:1], s16, v117, 0
	v_lshlrev_b32_e32 v99, 4, v117
	s_mul_hi_u32 s13, s16, 0x1900
	s_mul_i32 s18, s16, 0x1900
	global_load_dwordx4 v[38:41], v99, s[8:9]
	s_movk_i32 s6, 0x7000
	s_mov_b32 s24, 0xa000
	s_mov_b32 s28, 0x8000
	;; [unrolled: 1-line block ×7, first 2 shown]
	s_movk_i32 s29, 0xcd
	s_load_dwordx2 s[4:5], s[4:5], 0x38
	v_mad_u64_u32 v[4:5], s[0:1], s19, v4, v[1:2]
	s_mov_b32 s19, 0xbfd3c6ef
	v_mad_u64_u32 v[5:6], s[0:1], s17, v117, v[3:4]
	v_mov_b32_e32 v1, v4
	v_lshlrev_b64 v[0:1], 4, v[0:1]
	v_mov_b32_e32 v6, s3
	v_mov_b32_e32 v3, v5
	v_add_co_u32_e32 v4, vcc, s2, v0
	v_addc_co_u32_e32 v5, vcc, v6, v1, vcc
	v_lshlrev_b64 v[0:1], 4, v[2:3]
	v_mov_b32_e32 v2, s9
	v_add_co_u32_e32 v0, vcc, v4, v0
	v_addc_co_u32_e32 v1, vcc, v5, v1, vcc
	v_add_co_u32_e32 v98, vcc, s8, v99
	s_mul_i32 s0, s17, 0x1900
	v_addc_co_u32_e32 v12, vcc, 0, v2, vcc
	s_add_i32 s13, s13, s0
	global_load_dwordx4 v[20:23], v[0:1], off
	v_add_co_u32_e32 v0, vcc, s18, v0
	v_mov_b32_e32 v2, s13
	v_addc_co_u32_e32 v1, vcc, v1, v2, vcc
	s_movk_i32 s0, 0x1000
	v_add_co_u32_e32 v2, vcc, s0, v98
	v_addc_co_u32_e32 v3, vcc, 0, v12, vcc
	global_load_dwordx4 v[42:45], v[2:3], off offset:2304
	global_load_dwordx4 v[24:27], v[0:1], off
	s_movk_i32 s0, 0x4000
	v_add_co_u32_e32 v13, vcc, s25, v98
	v_add_co_u32_e64 v2, s[0:1], s0, v98
	v_add_co_u32_e64 v4, s[2:3], s26, v98
	;; [unrolled: 1-line block ×3, first 2 shown]
	v_addc_co_u32_e32 v14, vcc, 0, v12, vcc
	v_addc_co_u32_e64 v3, vcc, 0, v12, s[0:1]
	v_addc_co_u32_e64 v5, vcc, 0, v12, s[2:3]
	v_addc_co_u32_e64 v67, vcc, 0, v12, s[6:7]
	global_load_dwordx4 v[130:133], v[13:14], off offset:512
	global_load_dwordx4 v[118:121], v[2:3], off offset:2816
	;; [unrolled: 1-line block ×4, first 2 shown]
	v_mov_b32_e32 v2, s13
	v_add_co_u32_e32 v0, vcc, s18, v0
	v_addc_co_u32_e32 v1, vcc, v1, v2, vcc
	v_mov_b32_e32 v3, s13
	v_add_co_u32_e32 v2, vcc, s18, v0
	v_addc_co_u32_e32 v3, vcc, v1, v3, vcc
	v_mov_b32_e32 v15, s13
	global_load_dwordx4 v[4:7], v[0:1], off
	global_load_dwordx4 v[8:11], v[2:3], off
	v_add_co_u32_e32 v0, vcc, s18, v2
	v_addc_co_u32_e32 v1, vcc, v3, v15, vcc
	global_load_dwordx4 v[46:49], v[0:1], off
	s_waitcnt vmcnt(10)
	buffer_store_dword v38, off, s[36:39], 0 offset:48 ; 4-byte Folded Spill
	s_nop 0
	buffer_store_dword v39, off, s[36:39], 0 offset:52 ; 4-byte Folded Spill
	buffer_store_dword v40, off, s[36:39], 0 offset:56 ; 4-byte Folded Spill
	buffer_store_dword v41, off, s[36:39], 0 offset:60 ; 4-byte Folded Spill
	v_mov_b32_e32 v16, s13
	v_add_co_u32_e32 v2, vcc, s18, v0
	v_addc_co_u32_e32 v3, vcc, v1, v16, vcc
	v_mov_b32_e32 v37, s13
	v_add_co_u32_e32 v36, vcc, s18, v2
	v_addc_co_u32_e32 v37, vcc, v3, v37, vcc
	s_mov_b32 s0, 0x9000
	s_mov_b32 s6, 0x134454ff
	s_mov_b32 s7, 0x3fee6f0e
	s_waitcnt vmcnt(12)
	buffer_store_dword v42, off, s[36:39], 0 offset:32 ; 4-byte Folded Spill
	s_nop 0
	buffer_store_dword v43, off, s[36:39], 0 offset:36 ; 4-byte Folded Spill
	buffer_store_dword v44, off, s[36:39], 0 offset:40 ; 4-byte Folded Spill
	buffer_store_dword v45, off, s[36:39], 0 offset:44 ; 4-byte Folded Spill
	global_load_dwordx4 v[16:19], v[2:3], off
	s_waitcnt vmcnt(14)
	v_mov_b32_e32 v129, v121
	global_load_dwordx4 v[0:3], v[36:37], off
	v_mov_b32_e32 v128, v120
	v_mov_b32_e32 v127, v119
	;; [unrolled: 1-line block ×3, first 2 shown]
	s_waitcnt vmcnt(14)
	v_mov_b32_e32 v121, v103
	v_mov_b32_e32 v120, v102
	;; [unrolled: 1-line block ×4, first 2 shown]
	s_waitcnt vmcnt(13)
	v_mov_b32_e32 v103, v89
	v_mov_b32_e32 v102, v88
	;; [unrolled: 1-line block ×4, first 2 shown]
	v_mul_f64 v[28:29], v[22:23], v[40:41]
	v_mul_f64 v[30:31], v[20:21], v[40:41]
	v_fma_f64 v[28:29], v[20:21], v[38:39], v[28:29]
	v_add_co_u32_e32 v20, vcc, s0, v98
	v_addc_co_u32_e32 v21, vcc, 0, v12, vcc
	s_mov_b32 s0, 0xc000
	v_fma_f64 v[30:31], v[22:23], v[38:39], -v[30:31]
	global_load_dwordx4 v[122:125], v[20:21], off offset:1536
	v_mul_f64 v[32:33], v[26:27], v[44:45]
	v_mul_f64 v[34:35], v[24:25], v[44:45]
	v_fma_f64 v[32:33], v[24:25], v[42:43], v[32:33]
	v_add_co_u32_e32 v24, vcc, s18, v36
	v_addc_co_u32_e32 v25, vcc, v37, v15, vcc
	v_add_co_u32_e32 v74, vcc, s24, v98
	v_addc_co_u32_e32 v75, vcc, 0, v12, vcc
	;; [unrolled: 2-line block ×5, first 2 shown]
	s_mov_b32 s0, 0xe000
	v_mov_b32_e32 v15, 0xffff2b80
	v_add_co_u32_e32 v44, vcc, s0, v98
	v_mad_u64_u32 v[50:51], s[0:1], s16, v15, v[40:41]
	s_mul_i32 s0, s17, 0xffff2b80
	v_addc_co_u32_e32 v45, vcc, 0, v12, vcc
	s_sub_i32 s0, s0, s16
	v_add_u32_e32 v51, s0, v51
	v_add_co_u32_e32 v54, vcc, s18, v50
	v_mov_b32_e32 v15, s13
	v_addc_co_u32_e32 v55, vcc, v51, v15, vcc
	s_movk_i32 s0, 0x2000
	v_add_co_u32_e32 v56, vcc, s0, v98
	v_addc_co_u32_e32 v57, vcc, 0, v12, vcc
	v_add_co_u32_e32 v58, vcc, s18, v54
	v_addc_co_u32_e32 v59, vcc, v55, v15, vcc
	v_fma_f64 v[34:35], v[26:27], v[42:43], -v[34:35]
	global_load_dwordx4 v[20:23], v[24:25], off
	global_load_dwordx4 v[112:115], v[74:75], off offset:3840
	global_load_dwordx4 v[104:107], v[38:39], off offset:2048
	;; [unrolled: 1-line block ×3, first 2 shown]
	s_movk_i32 s0, 0x5000
	global_load_dwordx4 v[24:27], v[36:37], off
	s_mov_b32 s17, 0xbfe2cf23
	global_load_dwordx4 v[36:39], v[40:41], off
	s_nop 0
	global_load_dwordx4 v[40:43], v[50:51], off
	global_load_dwordx4 v[134:137], v99, s[8:9] offset:3200
	global_load_dwordx4 v[138:141], v[56:57], off offset:1408
	s_mov_b32 s8, 0x4755a5e
	global_load_dwordx4 v[50:53], v[54:55], off
	s_nop 0
	global_load_dwordx4 v[54:57], v[58:59], off
	global_load_dwordx4 v[142:145], v[13:14], off offset:3712
	v_add_co_u32_e32 v13, vcc, s18, v58
	v_mov_b32_e32 v14, s13
	v_addc_co_u32_e32 v14, vcc, v59, v14, vcc
	v_add_co_u32_e32 v62, vcc, s0, v98
	v_addc_co_u32_e32 v63, vcc, 0, v12, vcc
	global_load_dwordx4 v[58:61], v[13:14], off
	v_add_co_u32_e32 v13, vcc, s18, v13
	v_addc_co_u32_e32 v14, vcc, v14, v15, vcc
	global_load_dwordx4 v[146:149], v[62:63], off offset:1920
	s_nop 0
	global_load_dwordx4 v[62:65], v[13:14], off
	global_load_dwordx4 v[150:153], v[66:67], off offset:128
	v_add_co_u32_e32 v13, vcc, s18, v13
	v_addc_co_u32_e32 v14, vcc, v14, v15, vcc
	v_add_co_u32_e32 v70, vcc, s28, v98
	v_addc_co_u32_e32 v71, vcc, 0, v12, vcc
	global_load_dwordx4 v[66:69], v[13:14], off
	v_add_co_u32_e32 v13, vcc, s18, v13
	v_addc_co_u32_e32 v14, vcc, v14, v15, vcc
	global_load_dwordx4 v[154:157], v[70:71], off offset:2432
	s_nop 0
	global_load_dwordx4 v[70:73], v[13:14], off
	global_load_dwordx4 v[158:161], v[74:75], off offset:640
	v_add_co_u32_e32 v13, vcc, s18, v13
	v_addc_co_u32_e32 v14, vcc, v14, v15, vcc
	s_mov_b32 s0, 0xb000
	v_add_co_u32_e32 v78, vcc, s0, v98
	v_addc_co_u32_e32 v79, vcc, 0, v12, vcc
	global_load_dwordx4 v[74:77], v[13:14], off
	v_add_co_u32_e32 v13, vcc, s18, v13
	v_addc_co_u32_e32 v14, vcc, v14, v15, vcc
	v_add_co_u32_e32 v82, vcc, s27, v98
	v_addc_co_u32_e32 v83, vcc, 0, v12, vcc
	global_load_dwordx4 v[162:165], v[78:79], off offset:2944
	global_load_dwordx4 v[94:97], v[82:83], off offset:1152
	s_mov_b32 s9, 0x3fe2cf23
	global_load_dwordx4 v[78:81], v[13:14], off
	v_add_co_u32_e32 v13, vcc, s18, v13
	v_addc_co_u32_e32 v14, vcc, v14, v15, vcc
	global_load_dwordx4 v[82:85], v[13:14], off
	global_load_dwordx4 v[90:93], v[44:45], off offset:3456
	s_load_dwordx4 s[0:3], s[14:15], 0x0
	ds_write_b128 v99, v[28:31]
	ds_write_b128 v99, v[32:35] offset:6400
	buffer_store_dword v130, off, s[36:39], 0 offset:304 ; 4-byte Folded Spill
	s_nop 0
	buffer_store_dword v131, off, s[36:39], 0 offset:308 ; 4-byte Folded Spill
	buffer_store_dword v132, off, s[36:39], 0 offset:312 ; 4-byte Folded Spill
	buffer_store_dword v133, off, s[36:39], 0 offset:316 ; 4-byte Folded Spill
	buffer_store_dword v126, off, s[36:39], 0 offset:288 ; 4-byte Folded Spill
	s_nop 0
	buffer_store_dword v127, off, s[36:39], 0 offset:292 ; 4-byte Folded Spill
	buffer_store_dword v128, off, s[36:39], 0 offset:296 ; 4-byte Folded Spill
	buffer_store_dword v129, off, s[36:39], 0 offset:300 ; 4-byte Folded Spill
	;; [unrolled: 5-line block ×4, first 2 shown]
	s_waitcnt vmcnt(42)
	buffer_store_dword v122, off, s[36:39], 0 offset:240 ; 4-byte Folded Spill
	s_nop 0
	buffer_store_dword v123, off, s[36:39], 0 offset:244 ; 4-byte Folded Spill
	buffer_store_dword v124, off, s[36:39], 0 offset:248 ; 4-byte Folded Spill
	;; [unrolled: 1-line block ×3, first 2 shown]
	s_waitcnt vmcnt(44)
	buffer_store_dword v112, off, s[36:39], 0 offset:224 ; 4-byte Folded Spill
	s_nop 0
	buffer_store_dword v113, off, s[36:39], 0 offset:228 ; 4-byte Folded Spill
	buffer_store_dword v114, off, s[36:39], 0 offset:232 ; 4-byte Folded Spill
	;; [unrolled: 1-line block ×3, first 2 shown]
	s_mov_b32 s15, 0xbfee6f0e
	s_mov_b32 s14, s6
	;; [unrolled: 1-line block ×3, first 2 shown]
	v_mul_f64 v[13:14], v[6:7], v[132:133]
	v_mul_f64 v[28:29], v[4:5], v[132:133]
	;; [unrolled: 1-line block ×8, first 2 shown]
	v_fma_f64 v[4:5], v[4:5], v[130:131], v[13:14]
	v_fma_f64 v[6:7], v[6:7], v[130:131], -v[28:29]
	v_fma_f64 v[8:9], v[8:9], v[126:127], v[30:31]
	v_fma_f64 v[10:11], v[10:11], v[126:127], -v[32:33]
	;; [unrolled: 2-line block ×4, first 2 shown]
	ds_write_b128 v99, v[4:7] offset:12800
	ds_write_b128 v99, v[8:11] offset:19200
	ds_write_b128 v99, v[28:31] offset:25600
	ds_write_b128 v99, v[13:16] offset:32000
	s_waitcnt vmcnt(47)
	buffer_store_dword v104, off, s[36:39], 0 offset:208 ; 4-byte Folded Spill
	s_nop 0
	buffer_store_dword v105, off, s[36:39], 0 offset:212 ; 4-byte Folded Spill
	buffer_store_dword v106, off, s[36:39], 0 offset:216 ; 4-byte Folded Spill
	buffer_store_dword v107, off, s[36:39], 0 offset:220 ; 4-byte Folded Spill
	s_waitcnt vmcnt(50)
	buffer_store_dword v108, off, s[36:39], 0 offset:192 ; 4-byte Folded Spill
	s_nop 0
	buffer_store_dword v109, off, s[36:39], 0 offset:196 ; 4-byte Folded Spill
	buffer_store_dword v110, off, s[36:39], 0 offset:200 ; 4-byte Folded Spill
	buffer_store_dword v111, off, s[36:39], 0 offset:204 ; 4-byte Folded Spill
	;; [unrolled: 6-line block ×4, first 2 shown]
	v_mul_f64 v[17:18], v[2:3], v[124:125]
	v_mul_f64 v[34:35], v[22:23], v[114:115]
	v_mul_f64 v[44:45], v[20:21], v[114:115]
	v_mul_f64 v[32:33], v[0:1], v[124:125]
	v_fma_f64 v[0:1], v[0:1], v[122:123], v[17:18]
	v_fma_f64 v[4:5], v[20:21], v[112:113], v[34:35]
	v_fma_f64 v[6:7], v[22:23], v[112:113], -v[44:45]
	v_fma_f64 v[2:3], v[2:3], v[122:123], -v[32:33]
	v_mul_f64 v[8:9], v[26:27], v[106:107]
	v_mul_f64 v[10:11], v[24:25], v[106:107]
	;; [unrolled: 1-line block ×4, first 2 shown]
	s_waitcnt vmcnt(56)
	v_mul_f64 v[21:22], v[52:53], v[140:141]
	v_mul_f64 v[28:29], v[50:51], v[140:141]
	;; [unrolled: 1-line block ×4, first 2 shown]
	v_fma_f64 v[8:9], v[24:25], v[104:105], v[8:9]
	v_fma_f64 v[10:11], v[26:27], v[104:105], -v[10:11]
	v_fma_f64 v[17:18], v[40:41], v[134:135], v[17:18]
	v_fma_f64 v[19:20], v[42:43], v[134:135], -v[19:20]
	v_fma_f64 v[21:22], v[50:51], v[138:139], v[21:22]
	v_fma_f64 v[23:24], v[52:53], v[138:139], -v[28:29]
	v_fma_f64 v[13:14], v[36:37], v[108:109], v[13:14]
	v_fma_f64 v[15:16], v[38:39], v[108:109], -v[15:16]
	ds_write_b128 v99, v[0:3] offset:38400
	ds_write_b128 v99, v[4:7] offset:44800
	;; [unrolled: 1-line block ×6, first 2 shown]
	s_waitcnt vmcnt(54)
	buffer_store_dword v142, off, s[36:39], 0 offset:112 ; 4-byte Folded Spill
	s_nop 0
	buffer_store_dword v143, off, s[36:39], 0 offset:116 ; 4-byte Folded Spill
	buffer_store_dword v144, off, s[36:39], 0 offset:120 ; 4-byte Folded Spill
	buffer_store_dword v145, off, s[36:39], 0 offset:124 ; 4-byte Folded Spill
	s_waitcnt vmcnt(56)
	buffer_store_dword v146, off, s[36:39], 0 offset:96 ; 4-byte Folded Spill
	s_nop 0
	buffer_store_dword v147, off, s[36:39], 0 offset:100 ; 4-byte Folded Spill
	buffer_store_dword v148, off, s[36:39], 0 offset:104 ; 4-byte Folded Spill
	buffer_store_dword v149, off, s[36:39], 0 offset:108 ; 4-byte Folded Spill
	;; [unrolled: 6-line block ×4, first 2 shown]
	s_waitcnt vmcnt(56)
	buffer_store_dword v90, off, s[36:39], 0 ; 4-byte Folded Spill
	s_nop 0
	buffer_store_dword v91, off, s[36:39], 0 offset:4 ; 4-byte Folded Spill
	buffer_store_dword v92, off, s[36:39], 0 offset:8 ; 4-byte Folded Spill
	buffer_store_dword v93, off, s[36:39], 0 offset:12 ; 4-byte Folded Spill
	v_mul_f64 v[18:19], v[72:73], v[160:161]
	v_mul_f64 v[20:21], v[70:71], v[160:161]
	buffer_store_dword v158, off, s[36:39], 0 offset:176 ; 4-byte Folded Spill
	s_nop 0
	buffer_store_dword v159, off, s[36:39], 0 offset:180 ; 4-byte Folded Spill
	buffer_store_dword v160, off, s[36:39], 0 offset:184 ; 4-byte Folded Spill
	buffer_store_dword v161, off, s[36:39], 0 offset:188 ; 4-byte Folded Spill
	v_mul_f64 v[22:23], v[76:77], v[164:165]
	v_mul_f64 v[24:25], v[74:75], v[164:165]
	buffer_store_dword v162, off, s[36:39], 0 offset:144 ; 4-byte Folded Spill
	s_nop 0
	buffer_store_dword v163, off, s[36:39], 0 offset:148 ; 4-byte Folded Spill
	buffer_store_dword v164, off, s[36:39], 0 offset:152 ; 4-byte Folded Spill
	buffer_store_dword v165, off, s[36:39], 0 offset:156 ; 4-byte Folded Spill
	v_mul_f64 v[26:27], v[80:81], v[96:97]
	v_mul_f64 v[28:29], v[78:79], v[96:97]
	buffer_store_dword v94, off, s[36:39], 0 offset:16 ; 4-byte Folded Spill
	s_nop 0
	buffer_store_dword v95, off, s[36:39], 0 offset:20 ; 4-byte Folded Spill
	buffer_store_dword v96, off, s[36:39], 0 offset:24 ; 4-byte Folded Spill
	;; [unrolled: 1-line block ×3, first 2 shown]
	v_add_co_u32_e32 v13, vcc, s12, v117
	s_mov_b32 s12, 0x372fe950
	s_mov_b32 s13, 0x3fd3c6ef
	;; [unrolled: 1-line block ×3, first 2 shown]
	v_mul_f64 v[0:1], v[56:57], v[144:145]
	v_mul_f64 v[2:3], v[54:55], v[144:145]
	;; [unrolled: 1-line block ×10, first 2 shown]
	v_fma_f64 v[0:1], v[54:55], v[142:143], v[0:1]
	v_fma_f64 v[2:3], v[56:57], v[142:143], -v[2:3]
	v_fma_f64 v[4:5], v[58:59], v[146:147], v[4:5]
	v_fma_f64 v[6:7], v[60:61], v[146:147], -v[6:7]
	;; [unrolled: 2-line block ×8, first 2 shown]
	ds_write_b128 v99, v[0:3] offset:16000
	ds_write_b128 v99, v[4:7] offset:22400
	;; [unrolled: 1-line block ×8, first 2 shown]
	s_waitcnt vmcnt(0) lgkmcnt(0)
	s_barrier
	ds_read_b128 v[52:55], v99
	ds_read_b128 v[40:43], v99 offset:6400
	ds_read_b128 v[56:59], v99 offset:12800
	;; [unrolled: 1-line block ×12, first 2 shown]
	s_waitcnt lgkmcnt(8)
	v_add_f64 v[2:3], v[60:61], v[64:65]
	s_waitcnt lgkmcnt(4)
	v_add_f64 v[92:93], v[56:57], v[72:73]
	v_add_f64 v[0:1], v[52:53], v[56:57]
	v_add_f64 v[86:87], v[58:59], -v[74:75]
	v_add_f64 v[90:91], v[62:63], -v[66:67]
	;; [unrolled: 1-line block ×5, first 2 shown]
	v_fma_f64 v[84:85], v[2:3], -0.5, v[52:53]
	v_fma_f64 v[52:53], v[92:93], -0.5, v[52:53]
	v_add_f64 v[14:15], v[0:1], v[60:61]
	v_add_f64 v[102:103], v[54:55], v[58:59]
	v_add_f64 v[104:105], v[62:63], v[66:67]
	s_waitcnt lgkmcnt(3)
	v_add_f64 v[106:107], v[76:77], -v[68:69]
	v_add_f64 v[92:93], v[94:95], v[96:97]
	v_add_f64 v[96:97], v[60:61], -v[56:57]
	v_fma_f64 v[88:89], v[86:87], s[6:7], v[84:85]
	v_fma_f64 v[84:85], v[86:87], s[14:15], v[84:85]
	;; [unrolled: 1-line block ×4, first 2 shown]
	v_add_f64 v[14:15], v[14:15], v[64:65]
	v_add_f64 v[56:57], v[56:57], -v[72:73]
	v_add_f64 v[60:61], v[60:61], -v[64:65]
	ds_read_b128 v[4:7], v99 offset:22400
	v_fma_f64 v[88:89], v[90:91], s[8:9], v[88:89]
	v_fma_f64 v[84:85], v[90:91], s[16:17], v[84:85]
	;; [unrolled: 1-line block ×3, first 2 shown]
	v_add_f64 v[94:95], v[96:97], v[100:101]
	v_add_f64 v[96:97], v[102:103], v[62:63]
	;; [unrolled: 1-line block ×3, first 2 shown]
	v_fma_f64 v[102:103], v[104:105], -0.5, v[54:55]
	v_fma_f64 v[52:53], v[86:87], s[16:17], v[52:53]
	v_add_f64 v[14:15], v[14:15], v[72:73]
	v_fma_f64 v[86:87], v[92:93], s[12:13], v[88:89]
	v_fma_f64 v[84:85], v[92:93], s[12:13], v[84:85]
	;; [unrolled: 1-line block ×3, first 2 shown]
	v_add_f64 v[64:65], v[96:97], v[66:67]
	v_fma_f64 v[54:55], v[100:101], -0.5, v[54:55]
	v_fma_f64 v[72:73], v[56:57], s[14:15], v[102:103]
	v_fma_f64 v[90:91], v[94:95], s[12:13], v[52:53]
	v_add_f64 v[52:53], v[48:49], v[68:69]
	v_add_f64 v[92:93], v[58:59], -v[62:63]
	v_add_f64 v[94:95], v[74:75], -v[66:67]
	v_fma_f64 v[96:97], v[56:57], s[6:7], v[102:103]
	v_add_f64 v[102:103], v[64:65], v[74:75]
	v_fma_f64 v[100:101], v[60:61], s[6:7], v[54:55]
	v_fma_f64 v[64:65], v[60:61], s[16:17], v[72:73]
	v_add_f64 v[72:73], v[40:41], v[44:45]
	v_fma_f64 v[52:53], v[52:53], -0.5, v[40:41]
	v_add_f64 v[104:105], v[46:47], -v[78:79]
	v_add_f64 v[58:59], v[62:63], -v[58:59]
	v_add_f64 v[62:63], v[66:67], -v[74:75]
	v_fma_f64 v[54:55], v[60:61], s[14:15], v[54:55]
	v_add_f64 v[92:93], v[92:93], v[94:95]
	v_fma_f64 v[94:95], v[60:61], s[8:9], v[96:97]
	v_fma_f64 v[96:97], v[56:57], s[16:17], v[100:101]
	v_add_f64 v[60:61], v[72:73], v[48:49]
	v_fma_f64 v[66:67], v[104:105], s[6:7], v[52:53]
	v_add_f64 v[72:73], v[50:51], -v[70:71]
	v_add_f64 v[74:75], v[44:45], -v[48:49]
	v_add_f64 v[100:101], v[44:45], v[76:77]
	v_add_f64 v[58:59], v[58:59], v[62:63]
	v_fma_f64 v[54:55], v[56:57], s[8:9], v[54:55]
	v_fma_f64 v[62:63], v[92:93], s[12:13], v[64:65]
	v_add_f64 v[56:57], v[60:61], v[68:69]
	v_fma_f64 v[92:93], v[92:93], s[12:13], v[94:95]
	v_fma_f64 v[60:61], v[72:73], s[8:9], v[66:67]
	v_add_f64 v[64:65], v[74:75], v[106:107]
	v_fma_f64 v[40:41], v[100:101], -0.5, v[40:41]
	v_fma_f64 v[94:95], v[58:59], s[12:13], v[96:97]
	v_add_f64 v[66:67], v[50:51], v[70:71]
	v_fma_f64 v[96:97], v[58:59], s[12:13], v[54:55]
	v_add_f64 v[54:55], v[46:47], v[78:79]
	v_add_f64 v[74:75], v[56:57], v[76:77]
	v_fma_f64 v[52:53], v[104:105], s[14:15], v[52:53]
	v_fma_f64 v[58:59], v[64:65], s[12:13], v[60:61]
	;; [unrolled: 1-line block ×3, first 2 shown]
	v_add_f64 v[60:61], v[42:43], v[46:47]
	v_fma_f64 v[66:67], v[66:67], -0.5, v[42:43]
	v_add_f64 v[106:107], v[48:49], -v[68:69]
	v_fma_f64 v[42:43], v[54:55], -0.5, v[42:43]
	v_add_f64 v[100:101], v[44:45], -v[76:77]
	v_fma_f64 v[52:53], v[72:73], s[16:17], v[52:53]
	v_add_f64 v[44:45], v[48:49], -v[44:45]
	v_fma_f64 v[54:55], v[104:105], s[8:9], v[56:57]
	;; [unrolled: 2-line block ×3, first 2 shown]
	v_add_f64 v[56:57], v[60:61], v[50:51]
	v_fma_f64 v[68:69], v[106:107], s[6:7], v[42:43]
	v_add_f64 v[72:73], v[50:51], -v[46:47]
	v_add_f64 v[76:77], v[70:71], -v[78:79]
	;; [unrolled: 1-line block ×4, first 2 shown]
	v_add_f64 v[44:45], v[44:45], v[48:49]
	v_fma_f64 v[42:43], v[106:107], s[14:15], v[42:43]
	v_fma_f64 v[40:41], v[104:105], s[16:17], v[40:41]
	v_add_f64 v[48:49], v[56:57], v[70:71]
	v_fma_f64 v[56:57], v[100:101], s[16:17], v[68:69]
	v_add_f64 v[68:69], v[72:73], v[76:77]
	;; [unrolled: 2-line block ×3, first 2 shown]
	v_fma_f64 v[50:51], v[100:101], s[6:7], v[66:67]
	v_fma_f64 v[42:43], v[100:101], s[8:9], v[42:43]
	;; [unrolled: 1-line block ×7, first 2 shown]
	v_add_f64 v[70:71], v[48:49], v[78:79]
	v_fma_f64 v[40:41], v[106:107], s[8:9], v[50:51]
	v_fma_f64 v[42:43], v[68:69], s[12:13], v[42:43]
	v_mul_f64 v[44:45], v[58:59], s[20:21]
	v_mul_f64 v[50:51], v[64:65], s[18:19]
	ds_read_b128 v[24:27], v99 offset:28800
	ds_read_b128 v[8:11], v99 offset:35200
	ds_read_b128 v[28:31], v99 offset:41600
	ds_read_b128 v[0:3], v99 offset:48000
	v_mul_f64 v[48:49], v[66:67], s[6:7]
	v_fma_f64 v[60:61], v[46:47], s[12:13], v[60:61]
	v_mul_f64 v[56:57], v[52:53], s[22:23]
	v_fma_f64 v[46:47], v[46:47], s[12:13], v[40:41]
	ds_read_b128 v[36:39], v99 offset:54400
	ds_read_b128 v[16:19], v99 offset:60800
	v_add_f64 v[40:41], v[14:15], v[74:75]
	v_fma_f64 v[78:79], v[42:43], s[6:7], v[50:51]
	v_mul_f64 v[50:51], v[58:59], s[16:17]
	v_fma_f64 v[76:77], v[54:55], s[12:13], v[48:49]
	v_mul_f64 v[54:55], v[54:55], s[14:15]
	;; [unrolled: 2-line block ×3, first 2 shown]
	v_mul_f64 v[58:59], v[46:47], s[22:23]
	v_fma_f64 v[100:101], v[46:47], s[8:9], v[56:57]
	v_add_f64 v[72:73], v[14:15], -v[74:75]
	v_fma_f64 v[104:105], v[60:61], s[20:21], v[50:51]
	s_waitcnt lgkmcnt(7)
	v_add_f64 v[60:61], v[32:33], v[20:21]
	v_fma_f64 v[106:107], v[66:67], s[12:13], v[54:55]
	s_waitcnt lgkmcnt(3)
	v_add_f64 v[66:67], v[24:25], v[28:29]
	v_add_f64 v[56:57], v[86:87], v[68:69]
	v_fma_f64 v[108:109], v[64:65], s[14:15], v[42:43]
	v_add_f64 v[64:65], v[86:87], -v[68:69]
	s_waitcnt lgkmcnt(1)
	v_add_f64 v[112:113], v[22:23], -v[38:39]
	v_fma_f64 v[110:111], v[52:53], s[16:17], v[58:59]
	v_add_f64 v[14:15], v[60:61], v[24:25]
	v_add_f64 v[58:59], v[62:63], v[104:105]
	v_fma_f64 v[86:87], v[66:67], -0.5, v[32:33]
	v_add_f64 v[66:67], v[62:63], -v[104:105]
	v_add_f64 v[62:63], v[20:21], v[36:37]
	v_add_f64 v[48:49], v[88:89], v[76:77]
	;; [unrolled: 1-line block ×5, first 2 shown]
	v_add_f64 v[76:77], v[88:89], -v[76:77]
	v_add_f64 v[68:69], v[90:91], -v[78:79]
	;; [unrolled: 1-line block ×3, first 2 shown]
	v_add_f64 v[14:15], v[14:15], v[28:29]
	v_fma_f64 v[84:85], v[112:113], s[6:7], v[86:87]
	v_add_f64 v[88:89], v[26:27], -v[30:31]
	v_add_f64 v[78:79], v[94:95], -v[106:107]
	;; [unrolled: 1-line block ×4, first 2 shown]
	v_fma_f64 v[32:33], v[62:63], -0.5, v[32:33]
	v_add_f64 v[42:43], v[102:103], v[70:71]
	v_add_f64 v[46:47], v[96:97], v[108:109]
	;; [unrolled: 1-line block ×3, first 2 shown]
	v_add_f64 v[74:75], v[102:103], -v[70:71]
	v_add_f64 v[70:71], v[96:97], -v[108:109]
	;; [unrolled: 1-line block ×3, first 2 shown]
	v_add_f64 v[92:93], v[14:15], v[36:37]
	v_fma_f64 v[14:15], v[88:89], s[8:9], v[84:85]
	v_add_f64 v[96:97], v[26:27], v[30:31]
	v_add_f64 v[90:91], v[90:91], v[94:95]
	v_fma_f64 v[86:87], v[112:113], s[14:15], v[86:87]
	v_fma_f64 v[94:95], v[88:89], s[14:15], v[32:33]
	v_add_f64 v[84:85], v[34:35], v[22:23]
	v_add_f64 v[100:101], v[24:25], -v[20:21]
	v_add_f64 v[102:103], v[28:29], -v[36:37]
	v_fma_f64 v[32:33], v[88:89], s[6:7], v[32:33]
	v_fma_f64 v[96:97], v[96:97], -0.5, v[34:35]
	v_add_f64 v[20:21], v[20:21], -v[36:37]
	v_fma_f64 v[36:37], v[90:91], s[12:13], v[14:15]
	v_fma_f64 v[14:15], v[88:89], s[16:17], v[86:87]
	;; [unrolled: 1-line block ×3, first 2 shown]
	v_add_f64 v[94:95], v[22:23], v[38:39]
	v_add_f64 v[84:85], v[84:85], v[26:27]
	;; [unrolled: 1-line block ×3, first 2 shown]
	v_fma_f64 v[32:33], v[112:113], s[16:17], v[32:33]
	v_fma_f64 v[100:101], v[20:21], s[14:15], v[96:97]
	v_add_f64 v[24:25], v[24:25], -v[28:29]
	v_fma_f64 v[28:29], v[90:91], s[12:13], v[14:15]
	v_add_f64 v[14:15], v[22:23], -v[26:27]
	v_add_f64 v[90:91], v[38:39], -v[30:31]
	v_fma_f64 v[34:35], v[94:95], -0.5, v[34:35]
	v_add_f64 v[94:95], v[80:81], v[4:5]
	v_add_f64 v[84:85], v[84:85], v[30:31]
	v_fma_f64 v[86:87], v[88:89], s[12:13], v[86:87]
	v_fma_f64 v[32:33], v[88:89], s[12:13], v[32:33]
	;; [unrolled: 1-line block ×3, first 2 shown]
	v_add_f64 v[100:101], v[8:9], v[0:1]
	v_add_f64 v[14:15], v[14:15], v[90:91]
	v_fma_f64 v[90:91], v[20:21], s[6:7], v[96:97]
	v_add_f64 v[22:23], v[26:27], -v[22:23]
	v_add_f64 v[26:27], v[30:31], -v[38:39]
	v_fma_f64 v[96:97], v[24:25], s[6:7], v[34:35]
	v_fma_f64 v[30:31], v[24:25], s[14:15], v[34:35]
	v_add_f64 v[34:35], v[94:95], v[8:9]
	v_add_f64 v[84:85], v[84:85], v[38:39]
	v_fma_f64 v[38:39], v[100:101], -0.5, v[80:81]
	s_waitcnt lgkmcnt(0)
	v_add_f64 v[94:95], v[6:7], -v[18:19]
	v_fma_f64 v[24:25], v[24:25], s[8:9], v[90:91]
	v_add_f64 v[22:23], v[22:23], v[26:27]
	v_add_f64 v[26:27], v[4:5], v[16:17]
	v_fma_f64 v[90:91], v[20:21], s[16:17], v[96:97]
	v_fma_f64 v[20:21], v[20:21], s[8:9], v[30:31]
	v_add_f64 v[30:31], v[34:35], v[0:1]
	v_fma_f64 v[88:89], v[14:15], s[12:13], v[88:89]
	v_fma_f64 v[34:35], v[94:95], s[6:7], v[38:39]
	v_add_f64 v[96:97], v[10:11], -v[2:3]
	v_fma_f64 v[104:105], v[14:15], s[12:13], v[24:25]
	v_fma_f64 v[14:15], v[26:27], -0.5, v[80:81]
	v_add_f64 v[100:101], v[4:5], -v[8:9]
	v_add_f64 v[102:103], v[16:17], -v[0:1]
	v_fma_f64 v[90:91], v[22:23], s[12:13], v[90:91]
	v_fma_f64 v[106:107], v[22:23], s[12:13], v[20:21]
	v_add_f64 v[22:23], v[30:31], v[16:17]
	v_add_f64 v[30:31], v[6:7], v[18:19]
	;; [unrolled: 1-line block ×3, first 2 shown]
	v_fma_f64 v[24:25], v[96:97], s[8:9], v[34:35]
	v_fma_f64 v[34:35], v[94:95], s[14:15], v[38:39]
	;; [unrolled: 1-line block ×3, first 2 shown]
	v_add_f64 v[26:27], v[100:101], v[102:103]
	v_add_f64 v[80:81], v[8:9], -v[4:5]
	v_add_f64 v[100:101], v[0:1], -v[16:17]
	;; [unrolled: 1-line block ×3, first 2 shown]
	v_fma_f64 v[8:9], v[30:31], -0.5, v[82:83]
	v_fma_f64 v[20:21], v[20:21], -0.5, v[82:83]
	v_add_f64 v[4:5], v[4:5], -v[16:17]
	v_fma_f64 v[30:31], v[94:95], s[8:9], v[38:39]
	v_add_f64 v[38:39], v[82:83], v[6:7]
	v_fma_f64 v[16:17], v[26:27], s[12:13], v[24:25]
	v_fma_f64 v[24:25], v[96:97], s[16:17], v[34:35]
	v_add_f64 v[34:35], v[80:81], v[100:101]
	v_fma_f64 v[14:15], v[96:97], s[6:7], v[14:15]
	v_fma_f64 v[82:83], v[0:1], s[6:7], v[8:9]
	v_add_f64 v[96:97], v[10:11], -v[6:7]
	v_add_f64 v[100:101], v[2:3], -v[18:19]
	v_fma_f64 v[8:9], v[0:1], s[14:15], v[8:9]
	v_fma_f64 v[80:81], v[4:5], s[14:15], v[20:21]
	v_add_f64 v[6:7], v[6:7], -v[10:11]
	v_add_f64 v[102:103], v[18:19], -v[2:3]
	v_add_f64 v[10:11], v[38:39], v[10:11]
	v_fma_f64 v[20:21], v[4:5], s[6:7], v[20:21]
	v_fma_f64 v[38:39], v[4:5], s[16:17], v[82:83]
	v_add_f64 v[82:83], v[96:97], v[100:101]
	v_fma_f64 v[14:15], v[94:95], s[16:17], v[14:15]
	v_fma_f64 v[4:5], v[4:5], s[8:9], v[8:9]
	;; [unrolled: 1-line block ×3, first 2 shown]
	v_add_f64 v[6:7], v[6:7], v[102:103]
	v_add_f64 v[2:3], v[10:11], v[2:3]
	v_fma_f64 v[0:1], v[0:1], s[8:9], v[20:21]
	v_fma_f64 v[8:9], v[34:35], s[12:13], v[30:31]
	v_fma_f64 v[10:11], v[82:83], s[12:13], v[38:39]
	v_fma_f64 v[14:15], v[34:35], s[12:13], v[14:15]
	v_fma_f64 v[4:5], v[82:83], s[12:13], v[4:5]
	v_fma_f64 v[24:25], v[26:27], s[12:13], v[24:25]
	v_fma_f64 v[20:21], v[6:7], s[12:13], v[80:81]
	v_add_f64 v[38:39], v[2:3], v[18:19]
	v_fma_f64 v[2:3], v[6:7], s[12:13], v[0:1]
	v_mul_f64 v[26:27], v[16:17], s[20:21]
	v_mul_f64 v[16:17], v[16:17], s[16:17]
	;; [unrolled: 1-line block ×8, first 2 shown]
	v_fma_f64 v[26:27], v[20:21], s[8:9], v[26:27]
	v_fma_f64 v[102:103], v[20:21], s[20:21], v[16:17]
	;; [unrolled: 1-line block ×8, first 2 shown]
	v_add_f64 v[0:1], v[92:93], v[22:23]
	v_add_f64 v[2:3], v[84:85], v[38:39]
	;; [unrolled: 1-line block ×10, first 2 shown]
	v_add_f64 v[22:23], v[92:93], -v[22:23]
	v_add_f64 v[24:25], v[84:85], -v[38:39]
	v_mul_lo_u16_e32 v38, 10, v117
	v_add_f64 v[26:27], v[36:37], -v[26:27]
	v_add_f64 v[80:81], v[28:29], -v[100:101]
	;; [unrolled: 1-line block ×3, first 2 shown]
	v_lshlrev_b32_e32 v129, 4, v38
	v_mul_u32_u24_e32 v38, 10, v13
	v_add_f64 v[30:31], v[86:87], -v[94:95]
	v_add_f64 v[34:35], v[32:33], -v[96:97]
	;; [unrolled: 1-line block ×3, first 2 shown]
	v_lshlrev_b32_e32 v128, 4, v38
	v_add_f64 v[36:37], v[106:107], -v[110:111]
	v_add_f64 v[82:83], v[104:105], -v[82:83]
	s_barrier
	ds_write_b128 v129, v[40:43]
	ds_write_b128 v129, v[56:59] offset:16
	ds_write_b128 v129, v[48:51] offset:32
	;; [unrolled: 1-line block ×9, first 2 shown]
	ds_write_b128 v128, v[0:3]
	ds_write_b128 v128, v[4:7] offset:16
	ds_write_b128 v128, v[8:11] offset:32
	;; [unrolled: 1-line block ×9, first 2 shown]
	v_mul_lo_u16_sdwa v0, v117, s29 dst_sel:DWORD dst_unused:UNUSED_PAD src0_sel:BYTE_0 src1_sel:DWORD
	v_lshrrev_b16_e32 v15, 11, v0
	v_mul_lo_u16_e32 v0, 10, v15
	v_sub_u16_e32 v0, v117, v0
	v_and_b32_e32 v92, 0xff, v0
	v_mov_b32_e32 v0, s10
	s_movk_i32 s29, 0x90
	v_mov_b32_e32 v1, s11
	v_mad_u64_u32 v[0:1], s[30:31], v92, s29, v[0:1]
	s_waitcnt lgkmcnt(0)
	s_barrier
	global_load_dwordx4 v[24:27], v[0:1], off
	global_load_dwordx4 v[104:107], v[0:1], off offset:16
	global_load_dwordx4 v[82:85], v[0:1], off offset:32
	;; [unrolled: 1-line block ×8, first 2 shown]
	s_mov_b32 s29, 0xcccd
	v_mul_u32_u24_sdwa v0, v13, s29 dst_sel:DWORD dst_unused:UNUSED_PAD src0_sel:WORD_0 src1_sel:DWORD
	v_lshrrev_b32_e32 v93, 19, v0
	v_mul_lo_u16_e32 v0, 10, v93
	v_sub_u16_e32 v95, v13, v0
	v_mul_lo_u16_e32 v0, 0x90, v95
	v_add_co_u32_e32 v16, vcc, s10, v0
	v_mov_b32_e32 v14, s11
	v_addc_co_u32_e32 v17, vcc, 0, v14, vcc
	global_load_dwordx4 v[168:171], v[16:17], off
	global_load_dwordx4 v[164:167], v[16:17], off offset:16
	global_load_dwordx4 v[156:159], v[16:17], off offset:32
	global_load_dwordx4 v[152:155], v[16:17], off offset:48
	global_load_dwordx4 v[144:147], v[16:17], off offset:64
	global_load_dwordx4 v[140:143], v[16:17], off offset:80
	global_load_dwordx4 v[136:139], v[16:17], off offset:96
	ds_read_b128 v[0:3], v99 offset:6400
	ds_read_b128 v[4:7], v99 offset:12800
	global_load_dwordx4 v[132:135], v[16:17], off offset:112
	ds_read_b128 v[8:11], v99 offset:19200
	ds_read_b128 v[30:33], v99 offset:25600
	;; [unrolled: 1-line block ×9, first 2 shown]
	global_load_dwordx4 v[160:163], v[16:17], off offset:128
	ds_read_b128 v[64:67], v99 offset:22400
	s_waitcnt vmcnt(17)
	buffer_store_dword v24, off, s[36:39], 0 offset:524 ; 4-byte Folded Spill
	s_nop 0
	buffer_store_dword v25, off, s[36:39], 0 offset:528 ; 4-byte Folded Spill
	buffer_store_dword v26, off, s[36:39], 0 offset:532 ; 4-byte Folded Spill
	;; [unrolled: 1-line block ×3, first 2 shown]
	ds_read_b128 v[68:71], v99 offset:28800
	ds_read_b128 v[72:75], v99 offset:35200
	;; [unrolled: 1-line block ×3, first 2 shown]
	s_waitcnt vmcnt(20)
	buffer_store_dword v104, off, s[36:39], 0 offset:508 ; 4-byte Folded Spill
	s_nop 0
	buffer_store_dword v105, off, s[36:39], 0 offset:512 ; 4-byte Folded Spill
	buffer_store_dword v106, off, s[36:39], 0 offset:516 ; 4-byte Folded Spill
	;; [unrolled: 1-line block ×3, first 2 shown]
	ds_read_b128 v[100:103], v99 offset:48000
	s_waitcnt vmcnt(23)
	buffer_store_dword v82, off, s[36:39], 0 offset:492 ; 4-byte Folded Spill
	s_nop 0
	buffer_store_dword v83, off, s[36:39], 0 offset:496 ; 4-byte Folded Spill
	buffer_store_dword v84, off, s[36:39], 0 offset:500 ; 4-byte Folded Spill
	buffer_store_dword v85, off, s[36:39], 0 offset:504 ; 4-byte Folded Spill
	s_waitcnt vmcnt(26)
	buffer_store_dword v78, off, s[36:39], 0 offset:476 ; 4-byte Folded Spill
	s_nop 0
	buffer_store_dword v79, off, s[36:39], 0 offset:480 ; 4-byte Folded Spill
	buffer_store_dword v80, off, s[36:39], 0 offset:484 ; 4-byte Folded Spill
	buffer_store_dword v81, off, s[36:39], 0 offset:488 ; 4-byte Folded Spill
	;; [unrolled: 6-line block ×5, first 2 shown]
	buffer_store_dword v108, off, s[36:39], 0 offset:412 ; 4-byte Folded Spill
	s_nop 0
	buffer_store_dword v109, off, s[36:39], 0 offset:416 ; 4-byte Folded Spill
	buffer_store_dword v110, off, s[36:39], 0 offset:420 ; 4-byte Folded Spill
	buffer_store_dword v111, off, s[36:39], 0 offset:424 ; 4-byte Folded Spill
	s_waitcnt vmcnt(41)
	buffer_store_dword v148, off, s[36:39], 0 offset:364 ; 4-byte Folded Spill
	s_nop 0
	buffer_store_dword v149, off, s[36:39], 0 offset:368 ; 4-byte Folded Spill
	buffer_store_dword v150, off, s[36:39], 0 offset:372 ; 4-byte Folded Spill
	buffer_store_dword v151, off, s[36:39], 0 offset:376 ; 4-byte Folded Spill
	s_waitcnt vmcnt(44)
	;; [unrolled: 6-line block ×5, first 2 shown]
	buffer_store_dword v152, off, s[36:39], 0 offset:332 ; 4-byte Folded Spill
	s_nop 0
	buffer_store_dword v153, off, s[36:39], 0 offset:336 ; 4-byte Folded Spill
	buffer_store_dword v154, off, s[36:39], 0 offset:340 ; 4-byte Folded Spill
	buffer_store_dword v155, off, s[36:39], 0 offset:344 ; 4-byte Folded Spill
	v_mul_u32_u24_e32 v15, 0x64, v15
	s_movk_i32 s29, 0x64
	v_cmp_gt_u16_e32 vcc, s29, v117
	s_waitcnt lgkmcnt(14)
	v_mul_f64 v[16:17], v[2:3], v[26:27]
	v_mul_f64 v[18:19], v[0:1], v[26:27]
	;; [unrolled: 1-line block ×4, first 2 shown]
	s_waitcnt lgkmcnt(12)
	v_mul_f64 v[28:29], v[32:33], v[80:81]
	s_waitcnt lgkmcnt(11)
	v_mul_f64 v[76:77], v[36:37], v[124:125]
	v_fma_f64 v[16:17], v[0:1], v[24:25], -v[16:17]
	v_fma_f64 v[18:19], v[2:3], v[24:25], v[18:19]
	v_fma_f64 v[24:25], v[4:5], v[104:105], -v[20:21]
	v_fma_f64 v[22:23], v[6:7], v[104:105], v[22:23]
	v_mul_f64 v[4:5], v[30:31], v[80:81]
	v_mul_f64 v[6:7], v[38:39], v[124:125]
	;; [unrolled: 1-line block ×4, first 2 shown]
	v_fma_f64 v[30:31], v[30:31], v[78:79], -v[28:29]
	v_fma_f64 v[28:29], v[38:39], v[122:123], v[76:77]
	v_fma_f64 v[34:35], v[32:33], v[78:79], v[4:5]
	v_fma_f64 v[32:33], v[36:37], v[122:123], -v[6:7]
	s_waitcnt lgkmcnt(9)
	v_mul_f64 v[4:5], v[46:47], v[114:115]
	v_mul_f64 v[6:7], v[44:45], v[114:115]
	v_fma_f64 v[26:27], v[8:9], v[82:83], -v[0:1]
	v_fma_f64 v[20:21], v[10:11], v[82:83], v[2:3]
	v_mul_f64 v[0:1], v[42:43], v[120:121]
	v_mul_f64 v[2:3], v[40:41], v[120:121]
	s_waitcnt lgkmcnt(8)
	v_mul_f64 v[8:9], v[50:51], v[110:111]
	s_waitcnt lgkmcnt(7)
	v_mul_f64 v[10:11], v[52:53], v[150:151]
	v_fma_f64 v[78:79], v[44:45], v[112:113], -v[4:5]
	v_fma_f64 v[36:37], v[46:47], v[112:113], v[6:7]
	s_waitcnt lgkmcnt(6)
	v_mul_f64 v[4:5], v[58:59], v[170:171]
	v_mul_f64 v[6:7], v[56:57], v[170:171]
	v_fma_f64 v[76:77], v[40:41], v[118:119], -v[0:1]
	v_fma_f64 v[38:39], v[42:43], v[118:119], v[2:3]
	v_mul_f64 v[0:1], v[48:49], v[110:111]
	v_mul_f64 v[2:3], v[54:55], v[150:151]
	v_fma_f64 v[84:85], v[48:49], v[108:109], -v[8:9]
	s_waitcnt lgkmcnt(4)
	v_mul_f64 v[8:9], v[66:67], v[158:159]
	v_fma_f64 v[40:41], v[56:57], v[168:169], -v[4:5]
	v_fma_f64 v[42:43], v[58:59], v[168:169], v[6:7]
	v_mul_f64 v[4:5], v[64:65], v[158:159]
	s_waitcnt lgkmcnt(3)
	v_mul_f64 v[6:7], v[70:71], v[154:155]
	v_fma_f64 v[86:87], v[50:51], v[108:109], v[0:1]
	v_fma_f64 v[82:83], v[52:53], v[148:149], -v[2:3]
	v_mul_f64 v[0:1], v[62:63], v[166:167]
	v_mul_f64 v[2:3], v[60:61], v[166:167]
	v_fma_f64 v[44:45], v[64:65], v[156:157], -v[8:9]
	s_waitcnt vmcnt(56) lgkmcnt(2)
	v_mul_f64 v[8:9], v[74:75], v[146:147]
	v_fma_f64 v[46:47], v[66:67], v[156:157], v[4:5]
	v_fma_f64 v[56:57], v[68:69], v[152:153], -v[6:7]
	s_waitcnt vmcnt(55) lgkmcnt(1)
	v_mul_f64 v[4:5], v[90:91], v[142:143]
	v_mul_f64 v[6:7], v[88:89], v[142:143]
	v_fma_f64 v[50:51], v[60:61], v[164:165], -v[0:1]
	v_fma_f64 v[48:49], v[62:63], v[164:165], v[2:3]
	ds_read_b128 v[0:3], v99 offset:54400
	v_fma_f64 v[80:81], v[54:55], v[148:149], v[10:11]
	v_mul_f64 v[10:11], v[68:69], v[154:155]
	v_mul_f64 v[54:55], v[72:73], v[146:147]
	v_fma_f64 v[66:67], v[88:89], v[140:141], -v[4:5]
	v_fma_f64 v[62:63], v[90:91], v[140:141], v[6:7]
	ds_read_b128 v[4:7], v99 offset:60800
	s_waitcnt vmcnt(53) lgkmcnt(1)
	v_mul_f64 v[68:69], v[2:3], v[134:135]
	v_fma_f64 v[58:59], v[72:73], v[144:145], -v[8:9]
	v_mul_f64 v[72:73], v[0:1], v[134:135]
	v_fma_f64 v[52:53], v[70:71], v[152:153], v[10:11]
	v_fma_f64 v[54:55], v[74:75], v[144:145], v[54:55]
	v_mul_f64 v[8:9], v[102:103], v[138:139]
	v_mul_f64 v[10:11], v[100:101], v[138:139]
	v_add_f64 v[124:125], v[20:21], -v[80:81]
	v_fma_f64 v[70:71], v[0:1], v[132:133], -v[68:69]
	s_waitcnt vmcnt(52) lgkmcnt(0)
	v_mul_f64 v[0:1], v[6:7], v[162:163]
	v_fma_f64 v[68:69], v[2:3], v[132:133], v[72:73]
	v_mul_f64 v[2:3], v[4:5], v[162:163]
	v_add_f64 v[126:127], v[28:29], -v[36:37]
	v_fma_f64 v[64:65], v[100:101], v[136:137], -v[8:9]
	v_fma_f64 v[60:61], v[102:103], v[136:137], v[10:11]
	v_add_f64 v[8:9], v[30:31], v[76:77]
	v_add_f64 v[120:121], v[26:27], -v[82:83]
	v_fma_f64 v[74:75], v[4:5], v[160:161], -v[0:1]
	v_add_f64 v[4:5], v[24:25], v[84:85]
	v_fma_f64 v[72:73], v[6:7], v[160:161], v[2:3]
	ds_read_b128 v[0:3], v99
	v_add_f64 v[6:7], v[18:19], v[20:21]
	v_add_f64 v[122:123], v[32:33], -v[78:79]
	v_add_f64 v[150:151], v[22:23], -v[86:87]
	;; [unrolled: 1-line block ×3, first 2 shown]
	s_waitcnt lgkmcnt(0)
	v_fma_f64 v[96:97], v[8:9], -0.5, v[0:1]
	v_fma_f64 v[100:101], v[4:5], -0.5, v[0:1]
	v_add_f64 v[4:5], v[34:35], v[38:39]
	v_add_f64 v[0:1], v[0:1], v[24:25]
	;; [unrolled: 1-line block ×3, first 2 shown]
	v_add_f64 v[154:155], v[24:25], -v[84:85]
	v_add_f64 v[156:157], v[30:31], -v[76:77]
	v_fma_f64 v[102:103], v[4:5], -0.5, v[2:3]
	v_add_f64 v[4:5], v[22:23], v[86:87]
	v_add_f64 v[0:1], v[0:1], v[30:31]
	v_add_f64 v[6:7], v[6:7], v[36:37]
	v_fma_f64 v[104:105], v[4:5], -0.5, v[2:3]
	v_add_f64 v[2:3], v[2:3], v[22:23]
	v_add_f64 v[4:5], v[16:17], v[26:27]
	;; [unrolled: 1-line block ×13, first 2 shown]
	v_add_f64 v[4:5], v[8:9], -v[4:5]
	v_add_f64 v[6:7], v[10:11], -v[6:7]
	;; [unrolled: 1-line block ×6, first 2 shown]
	v_add_f64 v[106:107], v[8:9], v[10:11]
	v_add_f64 v[8:9], v[22:23], -v[34:35]
	v_add_f64 v[10:11], v[86:87], -v[38:39]
	;; [unrolled: 1-line block ×5, first 2 shown]
	v_add_f64 v[30:31], v[24:25], v[30:31]
	v_add_f64 v[108:109], v[8:9], v[10:11]
	v_add_f64 v[8:9], v[26:27], -v[32:33]
	v_add_f64 v[10:11], v[82:83], -v[78:79]
	v_add_f64 v[22:23], v[22:23], v[34:35]
	v_add_f64 v[110:111], v[8:9], v[10:11]
	v_add_f64 v[8:9], v[20:21], -v[28:29]
	v_add_f64 v[10:11], v[80:81], -v[36:37]
	v_add_f64 v[113:114], v[8:9], v[10:11]
	v_add_f64 v[8:9], v[32:33], v[78:79]
	v_add_f64 v[32:33], v[32:33], -v[26:27]
	v_add_f64 v[26:27], v[26:27], v[82:83]
	v_add_f64 v[82:83], v[42:43], v[46:47]
	v_fma_f64 v[115:116], v[8:9], -0.5, v[16:17]
	v_add_f64 v[8:9], v[28:29], v[36:37]
	v_add_f64 v[28:29], v[28:29], -v[20:21]
	v_add_f64 v[20:21], v[20:21], v[80:81]
	v_add_f64 v[36:37], v[36:37], -v[80:81]
	v_fma_f64 v[34:35], v[26:27], -0.5, v[16:17]
	v_add_f64 v[32:33], v[32:33], v[38:39]
	v_add_f64 v[82:83], v[82:83], v[54:55]
	v_fma_f64 v[10:11], v[124:125], s[6:7], v[115:116]
	v_fma_f64 v[118:119], v[8:9], -0.5, v[18:19]
	v_fma_f64 v[20:21], v[20:21], -0.5, v[18:19]
	v_add_f64 v[28:29], v[28:29], v[36:37]
	v_fma_f64 v[18:19], v[126:127], s[14:15], v[34:35]
	v_fma_f64 v[34:35], v[126:127], s[6:7], v[34:35]
	v_add_f64 v[82:83], v[82:83], v[60:61]
	v_fma_f64 v[10:11], v[126:127], s[8:9], v[10:11]
	v_fma_f64 v[8:9], v[120:121], s[14:15], v[118:119]
	;; [unrolled: 1-line block ×6, first 2 shown]
	v_add_f64 v[82:83], v[82:83], v[72:73]
	v_fma_f64 v[10:11], v[110:111], s[12:13], v[10:11]
	v_fma_f64 v[8:9], v[122:123], s[16:17], v[8:9]
	;; [unrolled: 1-line block ×9, first 2 shown]
	v_mul_f64 v[28:29], v[32:33], s[18:19]
	v_mul_f64 v[88:89], v[8:9], s[8:9]
	;; [unrolled: 1-line block ×3, first 2 shown]
	v_fma_f64 v[28:29], v[20:21], s[6:7], v[28:29]
	v_mul_f64 v[20:21], v[20:21], s[18:19]
	v_fma_f64 v[148:149], v[10:11], s[20:21], v[88:89]
	v_mul_f64 v[10:11], v[10:11], s[16:17]
	;; [unrolled: 2-line block ×3, first 2 shown]
	v_fma_f64 v[24:25], v[156:157], s[6:7], v[104:105]
	v_fma_f64 v[88:89], v[154:155], s[14:15], v[102:103]
	;; [unrolled: 1-line block ×14, first 2 shown]
	v_add_f64 v[26:27], v[38:39], v[18:19]
	v_add_f64 v[18:19], v[38:39], -v[18:19]
	v_fma_f64 v[38:39], v[120:121], s[6:7], v[118:119]
	v_add_f64 v[90:91], v[158:159], v[10:11]
	v_add_f64 v[10:11], v[158:159], -v[10:11]
	v_add_f64 v[88:89], v[8:9], v[148:149]
	v_add_f64 v[8:9], v[8:9], -v[148:149]
	;; [unrolled: 2-line block ×3, first 2 shown]
	v_fma_f64 v[36:37], v[152:153], s[6:7], v[100:101]
	v_fma_f64 v[38:39], v[122:123], s[8:9], v[38:39]
	v_add_f64 v[148:149], v[46:47], -v[72:73]
	v_add_f64 v[158:159], v[56:57], -v[66:67]
	v_fma_f64 v[36:37], v[150:151], s[16:17], v[36:37]
	v_fma_f64 v[30:31], v[30:31], s[12:13], v[36:37]
	;; [unrolled: 1-line block ×6, first 2 shown]
	v_add_f64 v[32:33], v[30:31], v[28:29]
	v_add_f64 v[20:21], v[30:31], -v[28:29]
	v_fma_f64 v[28:29], v[124:125], s[14:15], v[115:116]
	v_fma_f64 v[30:31], v[150:151], s[14:15], v[96:97]
	v_add_f64 v[150:151], v[54:55], -v[60:61]
	v_add_f64 v[124:125], v[44:45], -v[74:75]
	v_add_f64 v[34:35], v[22:23], v[36:37]
	v_add_f64 v[22:23], v[22:23], -v[36:37]
	v_fma_f64 v[36:37], v[154:155], s[6:7], v[102:103]
	v_fma_f64 v[28:29], v[126:127], s[16:17], v[28:29]
	;; [unrolled: 1-line block ×3, first 2 shown]
	v_add_f64 v[126:127], v[58:59], -v[64:65]
	v_add_f64 v[152:153], v[48:49], -v[68:69]
	;; [unrolled: 1-line block ×3, first 2 shown]
	v_fma_f64 v[36:37], v[156:157], s[8:9], v[36:37]
	v_fma_f64 v[28:29], v[110:111], s[12:13], v[28:29]
	;; [unrolled: 1-line block ×3, first 2 shown]
	v_add_f64 v[156:157], v[50:51], -v[70:71]
	v_fma_f64 v[76:77], v[108:109], s[12:13], v[36:37]
	v_fma_f64 v[36:37], v[113:114], s[12:13], v[38:39]
	v_mul_f64 v[38:39], v[28:29], s[22:23]
	v_fma_f64 v[78:79], v[36:37], s[8:9], v[38:39]
	v_mul_f64 v[36:37], v[36:37], s[22:23]
	v_fma_f64 v[80:81], v[28:29], s[16:17], v[36:37]
	v_add_f64 v[36:37], v[30:31], v[78:79]
	v_add_f64 v[28:29], v[30:31], -v[78:79]
	v_add_f64 v[38:39], v[76:77], v[80:81]
	v_add_f64 v[30:31], v[76:77], -v[80:81]
	v_add_f64 v[80:81], v[56:57], v[66:67]
	ds_read_b128 v[76:79], v99 offset:3200
	s_waitcnt vmcnt(0) lgkmcnt(0)
	s_barrier
	v_fma_f64 v[96:97], v[80:81], -0.5, v[76:77]
	v_add_f64 v[80:81], v[50:51], v[70:71]
	v_fma_f64 v[104:105], v[80:81], -0.5, v[76:77]
	v_add_f64 v[80:81], v[52:53], v[62:63]
	v_add_f64 v[76:77], v[76:77], v[50:51]
	v_fma_f64 v[106:107], v[80:81], -0.5, v[78:79]
	v_add_f64 v[80:81], v[48:49], v[68:69]
	;; [unrolled: 3-line block ×3, first 2 shown]
	v_add_f64 v[80:81], v[40:41], v[44:45]
	v_add_f64 v[76:77], v[76:77], v[66:67]
	;; [unrolled: 1-line block ×11, first 2 shown]
	v_add_f64 v[80:81], v[84:85], -v[80:81]
	v_add_f64 v[82:83], v[86:87], -v[82:83]
	v_add_f64 v[84:85], v[50:51], -v[56:57]
	v_add_f64 v[86:87], v[70:71], -v[66:67]
	v_add_f64 v[50:51], v[56:57], -v[50:51]
	v_add_f64 v[56:57], v[66:67], -v[70:71]
	v_add_f64 v[110:111], v[84:85], v[86:87]
	v_add_f64 v[84:85], v[48:49], -v[52:53]
	v_add_f64 v[86:87], v[68:69], -v[62:63]
	v_add_f64 v[48:49], v[52:53], -v[48:49]
	v_add_f64 v[52:53], v[62:63], -v[68:69]
	v_add_f64 v[62:63], v[64:65], -v[74:75]
	v_add_f64 v[50:51], v[50:51], v[56:57]
	v_add_f64 v[113:114], v[84:85], v[86:87]
	v_add_f64 v[84:85], v[44:45], -v[58:59]
	v_add_f64 v[86:87], v[74:75], -v[64:65]
	v_add_f64 v[48:49], v[48:49], v[52:53]
	v_add_f64 v[115:116], v[84:85], v[86:87]
	v_add_f64 v[84:85], v[46:47], -v[54:55]
	v_add_f64 v[86:87], v[72:73], -v[60:61]
	v_add_f64 v[118:119], v[84:85], v[86:87]
	v_add_f64 v[84:85], v[58:59], v[64:65]
	v_add_f64 v[58:59], v[58:59], -v[44:45]
	v_add_f64 v[44:45], v[44:45], v[74:75]
	v_fma_f64 v[120:121], v[84:85], -0.5, v[40:41]
	v_add_f64 v[84:85], v[54:55], v[60:61]
	v_add_f64 v[54:55], v[54:55], -v[46:47]
	v_add_f64 v[46:47], v[46:47], v[72:73]
	v_add_f64 v[60:61], v[60:61], -v[72:73]
	v_fma_f64 v[52:53], v[44:45], -0.5, v[40:41]
	v_add_f64 v[56:57], v[58:59], v[62:63]
	v_fma_f64 v[86:87], v[148:149], s[6:7], v[120:121]
	v_fma_f64 v[122:123], v[84:85], -0.5, v[42:43]
	v_fma_f64 v[64:65], v[46:47], -0.5, v[42:43]
	v_add_f64 v[54:55], v[54:55], v[60:61]
	v_fma_f64 v[42:43], v[150:151], s[14:15], v[52:53]
	v_fma_f64 v[86:87], v[150:151], s[8:9], v[86:87]
	;; [unrolled: 1-line block ×13, first 2 shown]
	v_mul_f64 v[100:101], v[84:85], s[8:9]
	v_mul_f64 v[44:45], v[40:41], s[6:7]
	v_fma_f64 v[100:101], v[86:87], s[20:21], v[100:101]
	v_mul_f64 v[86:87], v[86:87], s[16:17]
	v_fma_f64 v[44:45], v[42:43], s[12:13], v[44:45]
	;; [unrolled: 2-line block ×3, first 2 shown]
	v_fma_f64 v[84:85], v[152:153], s[6:7], v[96:97]
	v_fma_f64 v[46:47], v[40:41], s[12:13], v[42:43]
	;; [unrolled: 1-line block ×13, first 2 shown]
	v_add_f64 v[84:85], v[164:165], v[100:101]
	v_add_f64 v[100:101], v[164:165], -v[100:101]
	v_add_f64 v[40:41], v[58:59], v[44:45]
	v_add_f64 v[44:45], v[58:59], -v[44:45]
	v_fma_f64 v[58:59], v[154:155], s[6:7], v[104:105]
	v_add_f64 v[42:43], v[60:61], v[46:47]
	v_add_f64 v[46:47], v[60:61], -v[46:47]
	v_add_f64 v[86:87], v[166:167], v[102:103]
	v_add_f64 v[102:103], v[166:167], -v[102:103]
	v_fma_f64 v[58:59], v[152:153], s[16:17], v[58:59]
	v_fma_f64 v[58:59], v[50:51], s[12:13], v[58:59]
	;; [unrolled: 1-line block ×12, first 2 shown]
	v_mul_f64 v[52:53], v[48:49], s[18:19]
	v_fma_f64 v[56:57], v[150:151], s[16:17], v[56:57]
	v_fma_f64 v[52:53], v[50:51], s[6:7], v[52:53]
	v_mul_f64 v[50:51], v[50:51], s[18:19]
	v_fma_f64 v[56:57], v[115:116], s[12:13], v[56:57]
	v_fma_f64 v[54:55], v[48:49], s[14:15], v[50:51]
	v_add_f64 v[48:49], v[58:59], v[52:53]
	v_add_f64 v[52:53], v[58:59], -v[52:53]
	v_fma_f64 v[58:59], v[152:153], s[14:15], v[96:97]
	v_add_f64 v[50:51], v[60:61], v[54:55]
	v_add_f64 v[54:55], v[60:61], -v[54:55]
	v_fma_f64 v[60:61], v[156:157], s[6:7], v[106:107]
	v_fma_f64 v[58:59], v[154:155], s[16:17], v[58:59]
	;; [unrolled: 1-line block ×5, first 2 shown]
	v_add_lshl_u32 v119, v15, v92, 4
	ds_write_b128 v119, v[0:3]
	v_mad_legacy_u16 v0, v93, s29, v95
	v_lshlrev_b32_e32 v118, 4, v0
	v_add_u32_e32 v0, 0xffffff9c, v117
	v_fma_f64 v[66:67], v[113:114], s[12:13], v[60:61]
	v_mul_f64 v[60:61], v[56:57], s[22:23]
	v_cndmask_b32_e32 v15, v0, v117, vcc
	v_mul_i32_i24_e32 v0, 0x90, v15
	v_mul_hi_i32_i24_e32 v1, 0x90, v15
	v_add_co_u32_e32 v0, vcc, s10, v0
	v_addc_co_u32_e32 v1, vcc, v14, v1, vcc
	v_fma_f64 v[60:61], v[58:59], s[8:9], v[60:61]
	v_mul_f64 v[58:59], v[58:59], s[22:23]
	ds_write_b128 v119, v[88:91] offset:160
	ds_write_b128 v119, v[24:27] offset:320
	;; [unrolled: 1-line block ×9, first 2 shown]
	s_movk_i32 s29, 0x63
	v_fma_f64 v[62:63], v[56:57], s[16:17], v[58:59]
	v_add_f64 v[56:57], v[64:65], v[60:61]
	v_add_f64 v[60:61], v[64:65], -v[60:61]
	v_add_f64 v[58:59], v[66:67], v[62:63]
	v_add_f64 v[62:63], v[66:67], -v[62:63]
	ds_write_b128 v118, v[76:79]
	ds_write_b128 v118, v[84:87] offset:160
	ds_write_b128 v118, v[40:43] offset:320
	ds_write_b128 v118, v[48:51] offset:480
	ds_write_b128 v118, v[56:59] offset:640
	ds_write_b128 v118, v[80:83] offset:800
	ds_write_b128 v118, v[100:103] offset:960
	ds_write_b128 v118, v[44:47] offset:1120
	ds_write_b128 v118, v[52:55] offset:1280
	ds_write_b128 v118, v[60:63] offset:1440
	s_waitcnt lgkmcnt(0)
	s_barrier
	global_load_dwordx4 v[46:49], v[0:1], off offset:1440
	global_load_dwordx4 v[52:55], v[0:1], off offset:1456
	;; [unrolled: 1-line block ×9, first 2 shown]
	ds_read_b128 v[0:3], v99 offset:6400
	ds_read_b128 v[4:7], v99 offset:12800
	;; [unrolled: 1-line block ×4, first 2 shown]
	s_waitcnt vmcnt(8)
	buffer_store_dword v46, off, s[36:39], 0 offset:588 ; 4-byte Folded Spill
	s_nop 0
	buffer_store_dword v47, off, s[36:39], 0 offset:592 ; 4-byte Folded Spill
	buffer_store_dword v48, off, s[36:39], 0 offset:596 ; 4-byte Folded Spill
	;; [unrolled: 1-line block ×3, first 2 shown]
	ds_read_b128 v[34:37], v99 offset:32000
	ds_read_b128 v[38:41], v99 offset:38400
	;; [unrolled: 1-line block ×3, first 2 shown]
	s_waitcnt vmcnt(11)
	buffer_store_dword v52, off, s[36:39], 0 offset:572 ; 4-byte Folded Spill
	s_nop 0
	buffer_store_dword v53, off, s[36:39], 0 offset:576 ; 4-byte Folded Spill
	buffer_store_dword v54, off, s[36:39], 0 offset:580 ; 4-byte Folded Spill
	buffer_store_dword v55, off, s[36:39], 0 offset:584 ; 4-byte Folded Spill
	s_waitcnt vmcnt(14) lgkmcnt(4)
	v_mul_f64 v[32:33], v[10:11], v[58:59]
	v_mul_f64 v[16:17], v[2:3], v[48:49]
	;; [unrolled: 1-line block ×3, first 2 shown]
	s_waitcnt vmcnt(13)
	v_mov_b32_e32 v51, v27
	v_mov_b32_e32 v50, v26
	;; [unrolled: 1-line block ×4, first 2 shown]
	buffer_store_dword v48, off, s[36:39], 0 offset:540 ; 4-byte Folded Spill
	s_nop 0
	buffer_store_dword v49, off, s[36:39], 0 offset:544 ; 4-byte Folded Spill
	buffer_store_dword v50, off, s[36:39], 0 offset:548 ; 4-byte Folded Spill
	;; [unrolled: 1-line block ×3, first 2 shown]
	v_mul_f64 v[20:21], v[6:7], v[54:55]
	v_fma_f64 v[16:17], v[0:1], v[46:47], -v[16:17]
	v_mul_f64 v[0:1], v[8:9], v[58:59]
	buffer_store_dword v56, off, s[36:39], 0 offset:556 ; 4-byte Folded Spill
	s_nop 0
	buffer_store_dword v57, off, s[36:39], 0 offset:560 ; 4-byte Folded Spill
	buffer_store_dword v58, off, s[36:39], 0 offset:564 ; 4-byte Folded Spill
	;; [unrolled: 1-line block ×3, first 2 shown]
	v_mul_f64 v[22:23], v[4:5], v[54:55]
	v_fma_f64 v[18:19], v[2:3], v[46:47], v[18:19]
	v_fma_f64 v[26:27], v[4:5], v[52:53], -v[20:21]
	s_waitcnt vmcnt(20) lgkmcnt(2)
	v_mul_f64 v[4:5], v[36:37], v[182:183]
	v_fma_f64 v[24:25], v[6:7], v[52:53], v[22:23]
	v_mul_f64 v[6:7], v[34:35], v[182:183]
	v_fma_f64 v[34:35], v[34:35], v[180:181], -v[4:5]
	s_waitcnt vmcnt(18) lgkmcnt(0)
	v_mul_f64 v[4:5], v[44:45], v[174:175]
	v_fma_f64 v[76:77], v[42:43], v[172:173], -v[4:5]
	v_add_f64 v[122:123], v[34:35], -v[76:77]
	v_mul_f64 v[2:3], v[30:31], v[50:51]
	v_mul_f64 v[46:47], v[28:29], v[50:51]
	v_fma_f64 v[20:21], v[8:9], v[56:57], -v[32:33]
	v_mul_f64 v[8:9], v[40:41], v[178:179]
	v_fma_f64 v[22:23], v[10:11], v[56:57], v[0:1]
	v_mul_f64 v[10:11], v[38:39], v[178:179]
	v_fma_f64 v[32:33], v[28:29], v[48:49], -v[2:3]
	v_fma_f64 v[28:29], v[30:31], v[48:49], v[46:47]
	v_fma_f64 v[30:31], v[36:37], v[180:181], v[6:7]
	v_mul_f64 v[6:7], v[42:43], v[174:175]
	ds_read_b128 v[0:3], v99 offset:51200
	v_fma_f64 v[78:79], v[38:39], v[176:177], -v[8:9]
	v_fma_f64 v[38:39], v[40:41], v[176:177], v[10:11]
	v_fma_f64 v[36:37], v[44:45], v[172:173], v[6:7]
	ds_read_b128 v[4:7], v99 offset:57600
	s_waitcnt vmcnt(17) lgkmcnt(1)
	v_mul_f64 v[8:9], v[2:3], v[170:171]
	v_mul_f64 v[10:11], v[0:1], v[170:171]
	v_add_f64 v[228:229], v[28:29], -v[38:39]
	v_add_f64 v[232:233], v[32:33], -v[78:79]
	;; [unrolled: 1-line block ×3, first 2 shown]
	v_fma_f64 v[84:85], v[0:1], v[168:169], -v[8:9]
	s_waitcnt vmcnt(16) lgkmcnt(0)
	v_mul_f64 v[0:1], v[6:7], v[186:187]
	v_fma_f64 v[82:83], v[2:3], v[168:169], v[10:11]
	v_mul_f64 v[2:3], v[4:5], v[186:187]
	v_add_f64 v[230:231], v[26:27], -v[84:85]
	v_fma_f64 v[86:87], v[4:5], v[184:185], -v[0:1]
	v_lshrrev_b16_e32 v0, 2, v13
	v_mul_u32_u24_e32 v0, 0x147b, v0
	v_lshrrev_b32_e32 v100, 17, v0
	v_mul_lo_u16_e32 v0, 0x64, v100
	v_sub_u16_e32 v13, v13, v0
	v_mul_lo_u16_e32 v0, 0x90, v13
	v_add_co_u32_e32 v4, vcc, s10, v0
	v_addc_co_u32_e32 v5, vcc, 0, v14, vcc
	global_load_dwordx4 v[188:191], v[4:5], off offset:1440
	global_load_dwordx4 v[208:211], v[4:5], off offset:1456
	global_load_dwordx4 v[204:207], v[4:5], off offset:1472
	global_load_dwordx4 v[200:203], v[4:5], off offset:1488
	v_fma_f64 v[80:81], v[6:7], v[184:185], v[2:3]
	ds_read_b128 v[0:3], v99 offset:9600
	global_load_dwordx4 v[212:215], v[4:5], off offset:1504
	global_load_dwordx4 v[216:219], v[4:5], off offset:1520
	;; [unrolled: 1-line block ×5, first 2 shown]
	v_add_f64 v[120:121], v[20:21], -v[86:87]
	v_add_f64 v[124:125], v[22:23], -v[80:81]
	;; [unrolled: 1-line block ×3, first 2 shown]
	v_mov_b32_e32 v14, 0x3e8
	s_waitcnt vmcnt(8) lgkmcnt(0)
	v_mul_f64 v[6:7], v[2:3], v[190:191]
	v_fma_f64 v[40:41], v[0:1], v[188:189], -v[6:7]
	v_mul_f64 v[0:1], v[0:1], v[190:191]
	v_fma_f64 v[42:43], v[2:3], v[188:189], v[0:1]
	ds_read_b128 v[0:3], v99 offset:16000
	s_waitcnt vmcnt(7) lgkmcnt(0)
	v_mul_f64 v[6:7], v[2:3], v[210:211]
	v_fma_f64 v[44:45], v[0:1], v[208:209], -v[6:7]
	v_mul_f64 v[0:1], v[0:1], v[210:211]
	v_fma_f64 v[46:47], v[2:3], v[208:209], v[0:1]
	ds_read_b128 v[0:3], v99 offset:22400
	;; [unrolled: 6-line block ×7, first 2 shown]
	s_waitcnt vmcnt(1) lgkmcnt(0)
	v_mul_f64 v[6:7], v[2:3], v[198:199]
	v_fma_f64 v[68:69], v[0:1], v[196:197], -v[6:7]
	v_mul_f64 v[0:1], v[0:1], v[198:199]
	v_add_f64 v[6:7], v[18:19], v[22:23]
	v_fma_f64 v[70:71], v[2:3], v[196:197], v[0:1]
	ds_read_b128 v[0:3], v99 offset:60800
	v_add_f64 v[6:7], v[6:7], v[30:31]
	s_waitcnt vmcnt(0) lgkmcnt(0)
	v_mul_f64 v[4:5], v[2:3], v[194:195]
	v_add_f64 v[6:7], v[6:7], v[36:37]
	v_fma_f64 v[74:75], v[0:1], v[192:193], -v[4:5]
	v_mul_f64 v[0:1], v[0:1], v[194:195]
	v_add_f64 v[4:5], v[32:33], v[78:79]
	v_add_f64 v[6:7], v[6:7], v[80:81]
	v_fma_f64 v[72:73], v[2:3], v[192:193], v[0:1]
	ds_read_b128 v[0:3], v99
	s_waitcnt lgkmcnt(0)
	v_fma_f64 v[88:89], v[4:5], -0.5, v[0:1]
	v_add_f64 v[4:5], v[26:27], v[84:85]
	v_fma_f64 v[94:95], v[4:5], -0.5, v[0:1]
	v_add_f64 v[4:5], v[28:29], v[38:39]
	v_add_f64 v[0:1], v[0:1], v[26:27]
	v_fma_f64 v[96:97], v[4:5], -0.5, v[2:3]
	v_add_f64 v[4:5], v[24:25], v[82:83]
	;; [unrolled: 3-line block ×3, first 2 shown]
	v_add_f64 v[4:5], v[16:17], v[20:21]
	v_add_f64 v[0:1], v[0:1], v[78:79]
	;; [unrolled: 1-line block ×11, first 2 shown]
	v_add_f64 v[4:5], v[8:9], -v[4:5]
	v_add_f64 v[6:7], v[10:11], -v[6:7]
	;; [unrolled: 1-line block ×6, first 2 shown]
	v_add_f64 v[84:85], v[42:43], v[48:49]
	v_add_f64 v[103:104], v[8:9], v[10:11]
	v_add_f64 v[8:9], v[24:25], -v[28:29]
	v_add_f64 v[10:11], v[82:83], -v[38:39]
	;; [unrolled: 1-line block ×5, first 2 shown]
	v_add_f64 v[26:27], v[26:27], v[32:33]
	v_add_f64 v[82:83], v[44:45], v[68:69]
	;; [unrolled: 1-line block ×4, first 2 shown]
	v_add_f64 v[8:9], v[20:21], -v[34:35]
	v_add_f64 v[10:11], v[86:87], -v[76:77]
	v_add_f64 v[24:25], v[24:25], v[28:29]
	v_add_f64 v[84:85], v[84:85], v[64:65]
	;; [unrolled: 1-line block ×3, first 2 shown]
	v_add_f64 v[8:9], v[22:23], -v[30:31]
	v_add_f64 v[10:11], v[80:81], -v[36:37]
	v_add_f64 v[84:85], v[84:85], v[72:73]
	v_add_f64 v[109:110], v[8:9], v[10:11]
	;; [unrolled: 1-line block ×3, first 2 shown]
	v_add_f64 v[34:35], v[34:35], -v[20:21]
	v_add_f64 v[20:21], v[20:21], v[86:87]
	v_fma_f64 v[113:114], v[8:9], -0.5, v[16:17]
	v_add_f64 v[8:9], v[30:31], v[36:37]
	v_add_f64 v[30:31], v[30:31], -v[22:23]
	v_add_f64 v[22:23], v[22:23], v[80:81]
	v_add_f64 v[36:37], v[36:37], -v[80:81]
	v_fma_f64 v[28:29], v[20:21], -0.5, v[16:17]
	v_add_f64 v[32:33], v[34:35], v[38:39]
	v_fma_f64 v[10:11], v[124:125], s[6:7], v[113:114]
	v_fma_f64 v[115:116], v[8:9], -0.5, v[18:19]
	v_fma_f64 v[76:77], v[22:23], -0.5, v[18:19]
	v_add_f64 v[30:31], v[30:31], v[36:37]
	v_fma_f64 v[18:19], v[126:127], s[14:15], v[28:29]
	v_fma_f64 v[10:11], v[126:127], s[8:9], v[10:11]
	;; [unrolled: 1-line block ×13, first 2 shown]
	v_mul_f64 v[90:91], v[8:9], s[8:9]
	v_mul_f64 v[20:21], v[16:17], s[6:7]
	v_fma_f64 v[224:225], v[10:11], s[20:21], v[90:91]
	v_fma_f64 v[34:35], v[18:19], s[12:13], v[20:21]
	v_mul_f64 v[18:19], v[18:19], s[14:15]
	v_fma_f64 v[20:21], v[232:233], s[6:7], v[101:102]
	v_fma_f64 v[90:91], v[230:231], s[14:15], v[96:97]
	;; [unrolled: 3-line block ×3, first 2 shown]
	v_fma_f64 v[20:21], v[230:231], s[16:17], v[20:21]
	v_fma_f64 v[90:91], v[232:233], s[16:17], v[90:91]
	v_fma_f64 v[10:11], v[8:9], s[20:21], v[10:11]
	v_fma_f64 v[8:9], v[226:227], s[6:7], v[88:89]
	v_fma_f64 v[16:17], v[226:227], s[8:9], v[16:17]
	v_fma_f64 v[36:37], v[24:25], s[12:13], v[20:21]
	v_fma_f64 v[234:235], v[105:106], s[12:13], v[90:91]
	v_fma_f64 v[8:9], v[228:229], s[8:9], v[8:9]
	v_fma_f64 v[16:17], v[26:27], s[12:13], v[16:17]
	v_add_f64 v[22:23], v[36:37], v[18:19]
	v_add_f64 v[18:19], v[36:37], -v[18:19]
	v_add_f64 v[92:93], v[234:235], v[10:11]
	v_fma_f64 v[8:9], v[103:104], s[12:13], v[8:9]
	v_add_f64 v[10:11], v[234:235], -v[10:11]
	v_add_f64 v[234:235], v[52:53], -v[60:61]
	v_add_f64 v[20:21], v[16:17], v[34:35]
	v_add_f64 v[16:17], v[16:17], -v[34:35]
	v_fma_f64 v[34:35], v[228:229], s[6:7], v[94:95]
	v_add_f64 v[90:91], v[8:9], v[224:225]
	v_add_f64 v[8:9], v[8:9], -v[224:225]
	v_add_f64 v[224:225], v[48:49], -v[72:73]
	v_fma_f64 v[34:35], v[226:227], s[16:17], v[34:35]
	v_fma_f64 v[26:27], v[26:27], s[12:13], v[34:35]
	;; [unrolled: 1-line block ×11, first 2 shown]
	v_mul_f64 v[30:31], v[24:25], s[18:19]
	v_fma_f64 v[32:33], v[28:29], s[6:7], v[30:31]
	v_mul_f64 v[28:29], v[28:29], s[18:19]
	v_fma_f64 v[36:37], v[24:25], s[14:15], v[28:29]
	v_add_f64 v[28:29], v[26:27], v[32:33]
	v_add_f64 v[24:25], v[26:27], -v[32:33]
	v_fma_f64 v[32:33], v[124:125], s[14:15], v[113:114]
	v_add_f64 v[124:125], v[50:51], -v[74:75]
	v_add_f64 v[30:31], v[34:35], v[36:37]
	v_add_f64 v[26:27], v[34:35], -v[36:37]
	v_fma_f64 v[36:37], v[230:231], s[6:7], v[96:97]
	v_fma_f64 v[32:33], v[126:127], s[16:17], v[32:33]
	;; [unrolled: 1-line block ×3, first 2 shown]
	v_add_f64 v[226:227], v[56:57], -v[64:65]
	v_add_f64 v[126:127], v[58:59], -v[66:67]
	;; [unrolled: 1-line block ×3, first 2 shown]
	v_fma_f64 v[36:37], v[232:233], s[8:9], v[36:37]
	v_fma_f64 v[32:33], v[107:108], s[12:13], v[32:33]
	;; [unrolled: 1-line block ×3, first 2 shown]
	v_add_f64 v[228:229], v[46:47], -v[70:71]
	v_add_f64 v[232:233], v[44:45], -v[68:69]
	v_fma_f64 v[76:77], v[105:106], s[12:13], v[36:37]
	v_fma_f64 v[36:37], v[109:110], s[12:13], v[38:39]
	v_mul_f64 v[38:39], v[32:33], s[22:23]
	v_fma_f64 v[34:35], v[103:104], s[12:13], v[34:35]
	v_fma_f64 v[78:79], v[36:37], s[8:9], v[38:39]
	v_mul_f64 v[36:37], v[36:37], s[22:23]
	v_fma_f64 v[80:81], v[32:33], s[16:17], v[36:37]
	v_add_f64 v[36:37], v[34:35], v[78:79]
	v_add_f64 v[32:33], v[34:35], -v[78:79]
	v_add_f64 v[38:39], v[76:77], v[80:81]
	v_add_f64 v[34:35], v[76:77], -v[80:81]
	ds_read_b128 v[78:81], v99 offset:3200
	v_add_f64 v[76:77], v[52:53], v[60:61]
	s_waitcnt lgkmcnt(0)
	v_fma_f64 v[94:95], v[82:83], -0.5, v[78:79]
	v_add_f64 v[82:83], v[54:55], v[62:63]
	v_fma_f64 v[76:77], v[76:77], -0.5, v[78:79]
	v_add_f64 v[78:79], v[78:79], v[44:45]
	;; [unrolled: 2-line block ×3, first 2 shown]
	v_add_f64 v[78:79], v[78:79], v[52:53]
	v_fma_f64 v[105:106], v[82:83], -0.5, v[80:81]
	v_add_f64 v[80:81], v[80:81], v[46:47]
	v_add_f64 v[82:83], v[40:41], v[50:51]
	;; [unrolled: 1-line block ×12, first 2 shown]
	v_add_f64 v[82:83], v[86:87], -v[82:83]
	v_add_f64 v[84:85], v[88:89], -v[84:85]
	;; [unrolled: 1-line block ×7, first 2 shown]
	v_add_f64 v[107:108], v[86:87], v[88:89]
	v_add_f64 v[86:87], v[46:47], -v[54:55]
	v_add_f64 v[88:89], v[70:71], -v[62:63]
	;; [unrolled: 1-line block ×5, first 2 shown]
	v_add_f64 v[52:53], v[44:45], v[52:53]
	v_add_f64 v[109:110], v[86:87], v[88:89]
	v_add_f64 v[86:87], v[50:51], -v[58:59]
	v_add_f64 v[88:89], v[74:75], -v[66:67]
	v_add_f64 v[54:55], v[46:47], v[54:55]
	v_add_f64 v[113:114], v[86:87], v[88:89]
	v_add_f64 v[86:87], v[48:49], -v[56:57]
	v_add_f64 v[88:89], v[72:73], -v[64:65]
	v_add_f64 v[115:116], v[86:87], v[88:89]
	v_add_f64 v[86:87], v[58:59], v[66:67]
	v_add_f64 v[58:59], v[58:59], -v[50:51]
	v_add_f64 v[50:51], v[50:51], v[74:75]
	v_fma_f64 v[120:121], v[86:87], -0.5, v[40:41]
	v_add_f64 v[86:87], v[56:57], v[64:65]
	v_add_f64 v[56:57], v[56:57], -v[48:49]
	v_add_f64 v[48:49], v[48:49], v[72:73]
	v_fma_f64 v[50:51], v[50:51], -0.5, v[40:41]
	v_add_f64 v[58:59], v[58:59], v[60:61]
	v_fma_f64 v[88:89], v[224:225], s[6:7], v[120:121]
	v_fma_f64 v[122:123], v[86:87], -0.5, v[42:43]
	v_add_f64 v[56:57], v[56:57], v[62:63]
	v_fma_f64 v[48:49], v[48:49], -0.5, v[42:43]
	v_fma_f64 v[42:43], v[226:227], s[14:15], v[50:51]
	v_fma_f64 v[50:51], v[226:227], s[6:7], v[50:51]
	;; [unrolled: 1-line block ×17, first 2 shown]
	v_mul_f64 v[56:57], v[50:51], s[18:19]
	v_mul_f64 v[101:102], v[86:87], s[8:9]
	;; [unrolled: 1-line block ×3, first 2 shown]
	v_fma_f64 v[56:57], v[48:49], s[6:7], v[56:57]
	v_mul_f64 v[48:49], v[48:49], s[18:19]
	v_fma_f64 v[101:102], v[88:89], s[20:21], v[101:102]
	v_mul_f64 v[88:89], v[88:89], s[16:17]
	;; [unrolled: 2-line block ×3, first 2 shown]
	v_fma_f64 v[58:59], v[50:51], s[14:15], v[48:49]
	v_fma_f64 v[103:104], v[86:87], s[20:21], v[88:89]
	;; [unrolled: 1-line block ×15, first 2 shown]
	v_add_f64 v[86:87], v[236:237], v[101:102]
	v_add_f64 v[101:102], v[236:237], -v[101:102]
	v_add_f64 v[40:41], v[60:61], v[44:45]
	v_add_f64 v[44:45], v[60:61], -v[44:45]
	v_fma_f64 v[60:61], v[230:231], s[6:7], v[94:95]
	v_add_f64 v[42:43], v[62:63], v[46:47]
	v_add_f64 v[46:47], v[62:63], -v[46:47]
	v_fma_f64 v[62:63], v[124:125], s[6:7], v[122:123]
	;; [unrolled: 3-line block ×3, first 2 shown]
	v_fma_f64 v[62:63], v[126:127], s[8:9], v[62:63]
	v_fma_f64 v[52:53], v[52:53], s[12:13], v[60:61]
	;; [unrolled: 1-line block ×3, first 2 shown]
	v_add_f64 v[48:49], v[52:53], v[56:57]
	v_fma_f64 v[60:61], v[232:233], s[8:9], v[60:61]
	v_add_f64 v[52:53], v[52:53], -v[56:57]
	v_fma_f64 v[56:57], v[224:225], s[14:15], v[120:121]
	v_fma_f64 v[54:55], v[54:55], s[12:13], v[60:61]
	;; [unrolled: 1-line block ×4, first 2 shown]
	v_add_f64 v[50:51], v[54:55], v[58:59]
	v_add_f64 v[54:55], v[54:55], -v[58:59]
	v_fma_f64 v[58:59], v[228:229], s[14:15], v[76:77]
	v_fma_f64 v[60:61], v[234:235], s[8:9], v[60:61]
	;; [unrolled: 1-line block ×5, first 2 shown]
	v_mul_f64 v[60:61], v[56:57], s[22:23]
	v_fma_f64 v[64:65], v[107:108], s[12:13], v[58:59]
	v_fma_f64 v[58:59], v[115:116], s[12:13], v[62:63]
	;; [unrolled: 1-line block ×3, first 2 shown]
	v_mul_f64 v[58:59], v[58:59], s[22:23]
	v_fma_f64 v[62:63], v[56:57], s[16:17], v[58:59]
	v_add_f64 v[56:57], v[64:65], v[60:61]
	v_add_f64 v[60:61], v[64:65], -v[60:61]
	v_mov_b32_e32 v64, v117
	v_cmp_lt_u16_e32 vcc, s29, v64
	v_cndmask_b32_e32 v14, 0, v14, vcc
	v_add_lshl_u32 v112, v15, v14, 4
	buffer_store_dword v64, off, s[36:39], 0 offset:328 ; 4-byte Folded Spill
	s_waitcnt vmcnt(0)
	s_barrier
	ds_write_b128 v112, v[0:3]
	ds_write_b128 v112, v[90:93] offset:1600
	ds_write_b128 v112, v[20:23] offset:3200
	;; [unrolled: 1-line block ×9, first 2 shown]
	v_mad_u64_u32 v[22:23], s[10:11], v64, 48, s[10:11]
	v_add_f64 v[58:59], v[66:67], v[62:63]
	s_movk_i32 s29, 0x3e8
	v_mad_legacy_u16 v0, v100, s29, v13
	v_lshlrev_b32_e32 v117, 4, v0
	v_add_co_u32_e32 v0, vcc, s25, v22
	v_addc_co_u32_e32 v1, vcc, 0, v23, vcc
	v_add_f64 v[62:63], v[66:67], -v[62:63]
	ds_write_b128 v117, v[78:81]
	ds_write_b128 v117, v[86:89] offset:1600
	ds_write_b128 v117, v[40:43] offset:3200
	;; [unrolled: 1-line block ×9, first 2 shown]
	s_waitcnt lgkmcnt(0)
	s_barrier
	global_load_dwordx4 v[228:231], v[0:1], off offset:3552
	ds_read_b128 v[0:3], v99 offset:16000
	s_movk_i32 s10, 0x3de0
	ds_read_b128 v[18:21], v99 offset:54400
	s_waitcnt vmcnt(0) lgkmcnt(1)
	v_mul_f64 v[4:5], v[2:3], v[230:231]
	v_fma_f64 v[24:25], v[0:1], v[228:229], -v[4:5]
	v_add_co_u32_e32 v4, vcc, s10, v22
	v_addc_co_u32_e32 v5, vcc, 0, v23, vcc
	global_load_dwordx4 v[232:235], v[4:5], off offset:16
	global_load_dwordx4 v[224:227], v[4:5], off offset:32
	v_mul_f64 v[0:1], v[0:1], v[230:231]
	s_movk_i32 s10, 0x6360
	v_fma_f64 v[26:27], v[2:3], v[228:229], v[0:1]
	ds_read_b128 v[0:3], v99 offset:32000
	s_waitcnt vmcnt(1) lgkmcnt(0)
	v_mul_f64 v[6:7], v[2:3], v[234:235]
	v_fma_f64 v[28:29], v[0:1], v[232:233], -v[6:7]
	v_mul_f64 v[0:1], v[0:1], v[234:235]
	v_fma_f64 v[30:31], v[2:3], v[232:233], v[0:1]
	ds_read_b128 v[0:3], v99 offset:48000
	s_waitcnt vmcnt(0) lgkmcnt(0)
	v_mul_f64 v[4:5], v[2:3], v[226:227]
	v_fma_f64 v[32:33], v[0:1], v[224:225], -v[4:5]
	v_mul_f64 v[0:1], v[0:1], v[226:227]
	v_add_f64 v[32:33], v[24:25], -v[32:33]
	v_fma_f64 v[34:35], v[2:3], v[224:225], v[0:1]
	v_add_co_u32_e32 v0, vcc, s26, v22
	v_addc_co_u32_e32 v1, vcc, 0, v23, vcc
	global_load_dwordx4 v[236:239], v[0:1], off offset:864
	ds_read_b128 v[0:3], v99 offset:19200
	v_add_f64 v[34:35], v[26:27], -v[34:35]
	s_waitcnt vmcnt(0) lgkmcnt(0)
	v_mul_f64 v[4:5], v[2:3], v[238:239]
	v_fma_f64 v[16:17], v[0:1], v[236:237], -v[4:5]
	v_add_co_u32_e32 v4, vcc, s10, v22
	v_addc_co_u32_e32 v5, vcc, 0, v23, vcc
	global_load_dwordx4 v[248:251], v[4:5], off offset:16
	global_load_dwordx4 v[244:247], v[4:5], off offset:32
	v_mul_f64 v[0:1], v[0:1], v[238:239]
	s_mov_b32 s10, 0x88e0
	v_fma_f64 v[14:15], v[2:3], v[236:237], v[0:1]
	ds_read_b128 v[0:3], v99 offset:35200
	s_waitcnt vmcnt(1) lgkmcnt(0)
	v_mul_f64 v[6:7], v[2:3], v[250:251]
	v_fma_f64 v[36:37], v[0:1], v[248:249], -v[6:7]
	v_mul_f64 v[0:1], v[0:1], v[250:251]
	ds_read_b128 v[6:9], v99 offset:38400
	v_fma_f64 v[38:39], v[2:3], v[248:249], v[0:1]
	ds_read_b128 v[0:3], v99 offset:51200
	s_waitcnt vmcnt(0) lgkmcnt(0)
	v_mul_f64 v[4:5], v[2:3], v[246:247]
	v_fma_f64 v[40:41], v[0:1], v[244:245], -v[4:5]
	v_mul_f64 v[0:1], v[0:1], v[246:247]
	v_fma_f64 v[42:43], v[2:3], v[244:245], v[0:1]
	v_add_co_u32_e32 v0, vcc, s28, v22
	v_addc_co_u32_e32 v1, vcc, 0, v23, vcc
	global_load_dwordx4 v[240:243], v[0:1], off offset:2272
	v_add_co_u32_e32 v10, vcc, s10, v22
	v_addc_co_u32_e32 v11, vcc, 0, v23, vcc
	global_load_dwordx4 v[252:255], v[10:11], off offset:16
	global_load_dwordx4 v[164:167], v[10:11], off offset:32
	ds_read_b128 v[2:5], v99 offset:22400
	s_mov_b32 s10, 0xae60
	s_waitcnt vmcnt(2) lgkmcnt(0)
	v_mul_f64 v[0:1], v[4:5], v[242:243]
	s_waitcnt vmcnt(0)
	v_mul_f64 v[10:11], v[18:19], v[166:167]
	v_fma_f64 v[0:1], v[2:3], v[240:241], -v[0:1]
	v_mul_f64 v[2:3], v[2:3], v[242:243]
	v_fma_f64 v[10:11], v[20:21], v[164:165], v[10:11]
	v_fma_f64 v[2:3], v[4:5], v[240:241], v[2:3]
	v_mul_f64 v[4:5], v[8:9], v[254:255]
	v_add_f64 v[10:11], v[2:3], -v[10:11]
	v_fma_f64 v[4:5], v[6:7], v[252:253], -v[4:5]
	v_mul_f64 v[6:7], v[6:7], v[254:255]
	v_fma_f64 v[2:3], v[2:3], 2.0, -v[10:11]
	v_fma_f64 v[6:7], v[8:9], v[252:253], v[6:7]
	v_mul_f64 v[8:9], v[20:21], v[166:167]
	v_fma_f64 v[8:9], v[18:19], v[164:165], -v[8:9]
	v_add_co_u32_e32 v18, vcc, s24, v22
	v_addc_co_u32_e32 v19, vcc, 0, v23, vcc
	global_load_dwordx4 v[156:159], v[18:19], off offset:3680
	v_add_co_u32_e32 v48, vcc, s10, v22
	v_addc_co_u32_e32 v49, vcc, 0, v23, vcc
	global_load_dwordx4 v[148:151], v[48:49], off offset:16
	global_load_dwordx4 v[124:127], v[48:49], off offset:32
	ds_read_b128 v[18:21], v99 offset:25600
	s_mov_b32 s10, 0xd3e0
	v_add_f64 v[8:9], v[0:1], -v[8:9]
	v_fma_f64 v[0:1], v[0:1], 2.0, -v[8:9]
	s_waitcnt vmcnt(2) lgkmcnt(0)
	v_mul_f64 v[44:45], v[20:21], v[158:159]
	v_fma_f64 v[44:45], v[18:19], v[156:157], -v[44:45]
	v_mul_f64 v[18:19], v[18:19], v[158:159]
	v_fma_f64 v[46:47], v[20:21], v[156:157], v[18:19]
	ds_read_b128 v[18:21], v99 offset:41600
	s_waitcnt vmcnt(1) lgkmcnt(0)
	v_mul_f64 v[50:51], v[20:21], v[150:151]
	v_fma_f64 v[50:51], v[18:19], v[148:149], -v[50:51]
	v_mul_f64 v[18:19], v[18:19], v[150:151]
	v_fma_f64 v[52:53], v[20:21], v[148:149], v[18:19]
	ds_read_b128 v[18:21], v99 offset:57600
	s_waitcnt vmcnt(0) lgkmcnt(0)
	v_mul_f64 v[48:49], v[20:21], v[126:127]
	v_fma_f64 v[48:49], v[18:19], v[124:125], -v[48:49]
	v_mul_f64 v[18:19], v[18:19], v[126:127]
	v_fma_f64 v[54:55], v[20:21], v[124:125], v[18:19]
	v_add_co_u32_e32 v18, vcc, s27, v22
	v_addc_co_u32_e32 v19, vcc, 0, v23, vcc
	global_load_dwordx4 v[152:155], v[18:19], off offset:992
	v_add_co_u32_e32 v22, vcc, s10, v22
	v_addc_co_u32_e32 v23, vcc, 0, v23, vcc
	global_load_dwordx4 v[120:123], v[22:23], off offset:16
	global_load_dwordx4 v[113:116], v[22:23], off offset:32
	ds_read_b128 v[18:21], v99 offset:28800
	s_mov_b32 s10, 0xf000
	s_waitcnt vmcnt(2) lgkmcnt(0)
	v_mul_f64 v[56:57], v[20:21], v[154:155]
	v_fma_f64 v[56:57], v[18:19], v[152:153], -v[56:57]
	v_mul_f64 v[18:19], v[18:19], v[154:155]
	v_fma_f64 v[58:59], v[20:21], v[152:153], v[18:19]
	ds_read_b128 v[18:21], v99 offset:44800
	s_waitcnt vmcnt(1) lgkmcnt(0)
	v_mul_f64 v[60:61], v[20:21], v[122:123]
	v_fma_f64 v[60:61], v[18:19], v[120:121], -v[60:61]
	v_mul_f64 v[18:19], v[18:19], v[122:123]
	v_fma_f64 v[62:63], v[20:21], v[120:121], v[18:19]
	ds_read_b128 v[18:21], v99 offset:60800
	s_waitcnt vmcnt(0) lgkmcnt(0)
	v_mul_f64 v[22:23], v[20:21], v[115:116]
	v_fma_f64 v[64:65], v[18:19], v[113:114], -v[22:23]
	v_mul_f64 v[18:19], v[18:19], v[115:116]
	v_fma_f64 v[66:67], v[20:21], v[113:114], v[18:19]
	ds_read_b128 v[18:21], v99
	s_waitcnt lgkmcnt(0)
	v_add_f64 v[28:29], v[18:19], -v[28:29]
	v_add_f64 v[30:31], v[20:21], -v[30:31]
	v_fma_f64 v[22:23], v[18:19], 2.0, -v[28:29]
	v_fma_f64 v[68:69], v[20:21], 2.0, -v[30:31]
	;; [unrolled: 1-line block ×4, first 2 shown]
	v_add_f64 v[18:19], v[22:23], -v[18:19]
	v_add_f64 v[20:21], v[68:69], -v[20:21]
	v_fma_f64 v[22:23], v[22:23], 2.0, -v[18:19]
	v_fma_f64 v[24:25], v[68:69], 2.0, -v[20:21]
	ds_write_b128 v99, v[22:25]
	v_add_f64 v[22:23], v[28:29], -v[34:35]
	v_add_f64 v[24:25], v[30:31], v[32:33]
	v_fma_f64 v[26:27], v[28:29], 2.0, -v[22:23]
	v_fma_f64 v[28:29], v[30:31], 2.0, -v[24:25]
	ds_write_b128 v99, v[26:29] offset:16000
	ds_write_b128 v99, v[18:21] offset:32000
	;; [unrolled: 1-line block ×3, first 2 shown]
	ds_read_b128 v[18:21], v99 offset:3200
	v_add_f64 v[26:27], v[16:17], -v[40:41]
	v_add_f64 v[28:29], v[14:15], -v[42:43]
	s_waitcnt lgkmcnt(0)
	v_add_f64 v[22:23], v[18:19], -v[36:37]
	v_add_f64 v[24:25], v[20:21], -v[38:39]
	v_fma_f64 v[16:17], v[16:17], 2.0, -v[26:27]
	v_fma_f64 v[30:31], v[14:15], 2.0, -v[28:29]
	;; [unrolled: 1-line block ×4, first 2 shown]
	v_add_f64 v[13:14], v[18:19], -v[16:17]
	v_add_f64 v[15:16], v[20:21], -v[30:31]
	v_fma_f64 v[17:18], v[18:19], 2.0, -v[13:14]
	v_fma_f64 v[19:20], v[20:21], 2.0, -v[15:16]
	ds_write_b128 v99, v[17:20] offset:3200
	v_add_f64 v[17:18], v[22:23], -v[28:29]
	v_add_f64 v[19:20], v[24:25], v[26:27]
	v_fma_f64 v[21:22], v[22:23], 2.0, -v[17:18]
	v_fma_f64 v[23:24], v[24:25], 2.0, -v[19:20]
	ds_write_b128 v99, v[21:24] offset:19200
	ds_write_b128 v99, v[13:16] offset:35200
	;; [unrolled: 1-line block ×3, first 2 shown]
	ds_read_b128 v[13:16], v99 offset:6400
	s_waitcnt lgkmcnt(0)
	v_add_f64 v[17:18], v[13:14], -v[4:5]
	v_add_f64 v[19:20], v[15:16], -v[6:7]
	v_fma_f64 v[4:5], v[13:14], 2.0, -v[17:18]
	v_fma_f64 v[6:7], v[15:16], 2.0, -v[19:20]
	v_add_f64 v[13:14], v[44:45], -v[48:49]
	v_add_f64 v[15:16], v[46:47], -v[54:55]
	;; [unrolled: 1-line block ×4, first 2 shown]
	v_fma_f64 v[4:5], v[4:5], 2.0, -v[0:1]
	v_fma_f64 v[6:7], v[6:7], 2.0, -v[2:3]
	ds_write_b128 v99, v[4:7] offset:6400
	v_add_f64 v[4:5], v[17:18], -v[10:11]
	v_add_f64 v[6:7], v[19:20], v[8:9]
	v_fma_f64 v[8:9], v[17:18], 2.0, -v[4:5]
	v_fma_f64 v[10:11], v[19:20], 2.0, -v[6:7]
	ds_write_b128 v99, v[8:11] offset:22400
	ds_write_b128 v99, v[0:3] offset:38400
	;; [unrolled: 1-line block ×3, first 2 shown]
	ds_read_b128 v[0:3], v99 offset:9600
	s_waitcnt lgkmcnt(0)
	v_add_f64 v[8:9], v[0:1], -v[50:51]
	v_add_f64 v[10:11], v[2:3], -v[52:53]
	v_fma_f64 v[4:5], v[0:1], 2.0, -v[8:9]
	v_fma_f64 v[6:7], v[2:3], 2.0, -v[10:11]
	;; [unrolled: 1-line block ×4, first 2 shown]
	v_add_f64 v[0:1], v[4:5], -v[0:1]
	v_add_f64 v[2:3], v[6:7], -v[2:3]
	v_fma_f64 v[4:5], v[4:5], 2.0, -v[0:1]
	v_fma_f64 v[6:7], v[6:7], 2.0, -v[2:3]
	ds_write_b128 v99, v[4:7] offset:9600
	v_add_f64 v[4:5], v[8:9], -v[15:16]
	v_add_f64 v[6:7], v[10:11], v[13:14]
	v_add_f64 v[13:14], v[56:57], -v[64:65]
	v_add_f64 v[15:16], v[58:59], -v[66:67]
	v_fma_f64 v[8:9], v[8:9], 2.0, -v[4:5]
	v_fma_f64 v[10:11], v[10:11], 2.0, -v[6:7]
	ds_write_b128 v99, v[8:11] offset:25600
	ds_write_b128 v99, v[0:3] offset:41600
	;; [unrolled: 1-line block ×3, first 2 shown]
	ds_read_b128 v[0:3], v99 offset:12800
	s_waitcnt lgkmcnt(0)
	v_add_f64 v[8:9], v[0:1], -v[60:61]
	v_add_f64 v[10:11], v[2:3], -v[62:63]
	v_fma_f64 v[4:5], v[0:1], 2.0, -v[8:9]
	v_fma_f64 v[6:7], v[2:3], 2.0, -v[10:11]
	;; [unrolled: 1-line block ×4, first 2 shown]
	v_add_f64 v[0:1], v[4:5], -v[0:1]
	v_add_f64 v[2:3], v[6:7], -v[2:3]
	v_fma_f64 v[4:5], v[4:5], 2.0, -v[0:1]
	v_fma_f64 v[6:7], v[6:7], 2.0, -v[2:3]
	ds_write_b128 v99, v[4:7] offset:12800
	v_add_f64 v[4:5], v[8:9], -v[15:16]
	v_add_f64 v[6:7], v[10:11], v[13:14]
	v_fma_f64 v[8:9], v[8:9], 2.0, -v[4:5]
	v_fma_f64 v[10:11], v[10:11], 2.0, -v[6:7]
	ds_write_b128 v99, v[8:11] offset:28800
	ds_write_b128 v99, v[0:3] offset:44800
	;; [unrolled: 1-line block ×3, first 2 shown]
	v_add_co_u32_e32 v0, vcc, s10, v98
	v_addc_co_u32_e32 v1, vcc, 0, v12, vcc
	s_waitcnt lgkmcnt(0)
	s_barrier
	global_load_dwordx4 v[0:3], v[0:1], off offset:2560
	ds_read_b128 v[4:7], v99
	s_mov_b32 s10, 0x11000
	ds_read_b128 v[104:107], v99 offset:54400
	ds_read_b128 v[108:111], v99 offset:48000
	s_waitcnt vmcnt(0) lgkmcnt(2)
	v_mul_f64 v[8:9], v[6:7], v[2:3]
	v_mul_f64 v[2:3], v[4:5], v[2:3]
	v_fma_f64 v[69:70], v[4:5], v[0:1], -v[8:9]
	v_add_co_u32_e32 v8, vcc, s10, v98
	v_addc_co_u32_e32 v9, vcc, 0, v12, vcc
	v_fma_f64 v[71:72], v[6:7], v[0:1], v[2:3]
	global_load_dwordx4 v[0:3], v[8:9], off offset:768
	ds_read_b128 v[4:7], v99 offset:6400
	s_mov_b32 s10, 0x12000
	s_waitcnt vmcnt(0) lgkmcnt(0)
	v_mul_f64 v[10:11], v[6:7], v[2:3]
	v_mul_f64 v[2:3], v[4:5], v[2:3]
	v_fma_f64 v[65:66], v[4:5], v[0:1], -v[10:11]
	v_fma_f64 v[67:68], v[6:7], v[0:1], v[2:3]
	v_add_co_u32_e32 v0, vcc, s10, v98
	v_addc_co_u32_e32 v1, vcc, 0, v12, vcc
	global_load_dwordx4 v[0:3], v[0:1], off offset:3072
	ds_read_b128 v[4:7], v99 offset:12800
	s_mov_b32 s10, 0x14000
	s_waitcnt vmcnt(0) lgkmcnt(0)
	v_mul_f64 v[10:11], v[6:7], v[2:3]
	v_mul_f64 v[2:3], v[4:5], v[2:3]
	v_fma_f64 v[61:62], v[4:5], v[0:1], -v[10:11]
	v_fma_f64 v[63:64], v[6:7], v[0:1], v[2:3]
	v_add_co_u32_e32 v0, vcc, s10, v98
	v_addc_co_u32_e32 v1, vcc, 0, v12, vcc
	global_load_dwordx4 v[0:3], v[0:1], off offset:1280
	ds_read_b128 v[4:7], v99 offset:19200
	s_mov_b32 s10, 0x15000
	s_waitcnt vmcnt(0) lgkmcnt(0)
	v_mul_f64 v[10:11], v[6:7], v[2:3]
	v_mul_f64 v[2:3], v[4:5], v[2:3]
	v_fma_f64 v[57:58], v[4:5], v[0:1], -v[10:11]
	v_add_co_u32_e32 v10, vcc, s10, v98
	v_addc_co_u32_e32 v11, vcc, 0, v12, vcc
	v_fma_f64 v[59:60], v[6:7], v[0:1], v[2:3]
	global_load_dwordx4 v[0:3], v[10:11], off offset:3584
	ds_read_b128 v[4:7], v99 offset:25600
	s_mov_b32 s10, 0x17000
	s_waitcnt vmcnt(0) lgkmcnt(0)
	v_mul_f64 v[13:14], v[6:7], v[2:3]
	v_mul_f64 v[2:3], v[4:5], v[2:3]
	v_fma_f64 v[53:54], v[4:5], v[0:1], -v[13:14]
	v_fma_f64 v[55:56], v[6:7], v[0:1], v[2:3]
	v_add_co_u32_e32 v0, vcc, s10, v98
	v_addc_co_u32_e32 v1, vcc, 0, v12, vcc
	global_load_dwordx4 v[0:3], v[0:1], off offset:1792
	ds_read_b128 v[4:7], v99 offset:32000
	s_mov_b32 s10, 0x19000
	v_add_co_u32_e32 v87, vcc, s10, v98
	v_addc_co_u32_e32 v88, vcc, 0, v12, vcc
	s_mov_b32 s10, 0x1a000
	s_waitcnt vmcnt(0) lgkmcnt(0)
	v_mul_f64 v[13:14], v[6:7], v[2:3]
	v_mul_f64 v[2:3], v[4:5], v[2:3]
	v_fma_f64 v[49:50], v[4:5], v[0:1], -v[13:14]
	v_fma_f64 v[51:52], v[6:7], v[0:1], v[2:3]
	global_load_dwordx4 v[0:3], v[87:88], off
	ds_read_b128 v[4:7], v99 offset:38400
	s_waitcnt vmcnt(0) lgkmcnt(0)
	v_mul_f64 v[13:14], v[6:7], v[2:3]
	v_mul_f64 v[2:3], v[4:5], v[2:3]
	v_fma_f64 v[45:46], v[4:5], v[0:1], -v[13:14]
	v_fma_f64 v[47:48], v[6:7], v[0:1], v[2:3]
	v_add_co_u32_e32 v0, vcc, s10, v98
	v_addc_co_u32_e32 v1, vcc, 0, v12, vcc
	global_load_dwordx4 v[0:3], v[0:1], off offset:2304
	ds_read_b128 v[4:7], v99 offset:44800
	s_mov_b32 s10, 0x1c000
	v_add_co_u32_e32 v89, vcc, s10, v98
	v_addc_co_u32_e32 v90, vcc, 0, v12, vcc
	s_mov_b32 s10, 0x1d000
	s_waitcnt vmcnt(0) lgkmcnt(0)
	v_mul_f64 v[13:14], v[6:7], v[2:3]
	v_mul_f64 v[2:3], v[4:5], v[2:3]
	v_fma_f64 v[41:42], v[4:5], v[0:1], -v[13:14]
	v_fma_f64 v[43:44], v[6:7], v[0:1], v[2:3]
	global_load_dwordx4 v[0:3], v[89:90], off offset:512
	ds_read_b128 v[4:7], v99 offset:51200
	s_waitcnt vmcnt(0) lgkmcnt(0)
	v_mul_f64 v[13:14], v[6:7], v[2:3]
	v_mul_f64 v[2:3], v[4:5], v[2:3]
	v_fma_f64 v[37:38], v[4:5], v[0:1], -v[13:14]
	v_fma_f64 v[39:40], v[6:7], v[0:1], v[2:3]
	v_add_co_u32_e32 v0, vcc, s10, v98
	v_addc_co_u32_e32 v1, vcc, 0, v12, vcc
	global_load_dwordx4 v[0:3], v[0:1], off offset:2816
	ds_read_b128 v[4:7], v99 offset:57600
	s_mov_b32 s10, 0xfa00
	s_waitcnt vmcnt(0) lgkmcnt(0)
	v_mul_f64 v[13:14], v[6:7], v[2:3]
	v_mul_f64 v[2:3], v[4:5], v[2:3]
	v_fma_f64 v[33:34], v[4:5], v[0:1], -v[13:14]
	v_fma_f64 v[35:36], v[6:7], v[0:1], v[2:3]
	v_add_co_u32_e32 v0, vcc, s10, v98
	v_addc_co_u32_e32 v1, vcc, 0, v12, vcc
	global_load_dwordx4 v[0:3], v[0:1], off offset:3200
	ds_read_b128 v[4:7], v99 offset:3200
	s_mov_b32 s10, 0x13000
	s_waitcnt vmcnt(0) lgkmcnt(0)
	v_mul_f64 v[13:14], v[6:7], v[2:3]
	v_mul_f64 v[2:3], v[4:5], v[2:3]
	v_fma_f64 v[29:30], v[4:5], v[0:1], -v[13:14]
	v_fma_f64 v[31:32], v[6:7], v[0:1], v[2:3]
	global_load_dwordx4 v[0:3], v[8:9], off offset:3968
	ds_read_b128 v[4:7], v99 offset:9600
	s_waitcnt vmcnt(0) lgkmcnt(0)
	v_mul_f64 v[8:9], v[6:7], v[2:3]
	v_mul_f64 v[2:3], v[4:5], v[2:3]
	v_fma_f64 v[25:26], v[4:5], v[0:1], -v[8:9]
	v_fma_f64 v[27:28], v[6:7], v[0:1], v[2:3]
	v_add_co_u32_e32 v0, vcc, s10, v98
	v_addc_co_u32_e32 v1, vcc, 0, v12, vcc
	global_load_dwordx4 v[0:3], v[0:1], off offset:2176
	ds_read_b128 v[4:7], v99 offset:16000
	s_mov_b32 s10, 0x16000
	s_waitcnt vmcnt(0) lgkmcnt(0)
	v_mul_f64 v[8:9], v[6:7], v[2:3]
	v_mul_f64 v[2:3], v[4:5], v[2:3]
	v_fma_f64 v[21:22], v[4:5], v[0:1], -v[8:9]
	v_fma_f64 v[23:24], v[6:7], v[0:1], v[2:3]
	global_load_dwordx4 v[0:3], v[10:11], off offset:384
	ds_read_b128 v[4:7], v99 offset:22400
	s_waitcnt vmcnt(0) lgkmcnt(0)
	v_mul_f64 v[8:9], v[6:7], v[2:3]
	v_mul_f64 v[2:3], v[4:5], v[2:3]
	v_fma_f64 v[17:18], v[4:5], v[0:1], -v[8:9]
	v_fma_f64 v[19:20], v[6:7], v[0:1], v[2:3]
	v_add_co_u32_e32 v0, vcc, s10, v98
	v_addc_co_u32_e32 v1, vcc, 0, v12, vcc
	global_load_dwordx4 v[0:3], v[0:1], off offset:2688
	ds_read_b128 v[4:7], v99 offset:28800
	s_mov_b32 s10, 0x18000
	s_waitcnt vmcnt(0) lgkmcnt(0)
	v_mul_f64 v[8:9], v[6:7], v[2:3]
	v_mul_f64 v[2:3], v[4:5], v[2:3]
	v_fma_f64 v[13:14], v[4:5], v[0:1], -v[8:9]
	v_fma_f64 v[15:16], v[6:7], v[0:1], v[2:3]
	v_add_co_u32_e32 v0, vcc, s10, v98
	v_addc_co_u32_e32 v1, vcc, 0, v12, vcc
	global_load_dwordx4 v[0:3], v[0:1], off offset:896
	ds_read_b128 v[4:7], v99 offset:35200
	s_mov_b32 s10, 0x1b000
	s_waitcnt vmcnt(0) lgkmcnt(0)
	v_mul_f64 v[8:9], v[6:7], v[2:3]
	v_mul_f64 v[2:3], v[4:5], v[2:3]
	v_fma_f64 v[8:9], v[4:5], v[0:1], -v[8:9]
	v_fma_f64 v[10:11], v[6:7], v[0:1], v[2:3]
	global_load_dwordx4 v[0:3], v[87:88], off offset:3200
	ds_read_b128 v[4:7], v99 offset:41600
	s_waitcnt vmcnt(0) lgkmcnt(0)
	v_mul_f64 v[87:88], v[6:7], v[2:3]
	v_mul_f64 v[91:92], v[4:5], v[2:3]
	v_fma_f64 v[2:3], v[4:5], v[0:1], -v[87:88]
	v_fma_f64 v[4:5], v[6:7], v[0:1], v[91:92]
	v_add_co_u32_e32 v0, vcc, s10, v98
	v_addc_co_u32_e32 v1, vcc, 0, v12, vcc
	global_load_dwordx4 v[94:97], v[0:1], off offset:1408
	s_mov_b32 s10, 0x1e000
	s_waitcnt vmcnt(0)
	v_mul_f64 v[0:1], v[110:111], v[96:97]
	v_mul_f64 v[6:7], v[108:109], v[96:97]
	v_fma_f64 v[108:109], v[108:109], v[94:95], -v[0:1]
	v_fma_f64 v[110:111], v[110:111], v[94:95], v[6:7]
	global_load_dwordx4 v[94:97], v[89:90], off offset:3712
	ds_read_b128 v[90:93], v99 offset:60800
	s_waitcnt vmcnt(0)
	v_mul_f64 v[0:1], v[106:107], v[96:97]
	v_mul_f64 v[6:7], v[104:105], v[96:97]
	v_fma_f64 v[104:105], v[104:105], v[94:95], -v[0:1]
	v_add_co_u32_e32 v0, vcc, s10, v98
	v_addc_co_u32_e32 v1, vcc, 0, v12, vcc
	v_fma_f64 v[106:107], v[106:107], v[94:95], v[6:7]
	global_load_dwordx4 v[94:97], v[0:1], off offset:1920
	s_waitcnt vmcnt(0) lgkmcnt(0)
	v_mul_f64 v[0:1], v[92:93], v[96:97]
	v_mul_f64 v[6:7], v[90:91], v[96:97]
	v_fma_f64 v[87:88], v[90:91], v[94:95], -v[0:1]
	v_fma_f64 v[89:90], v[92:93], v[94:95], v[6:7]
	ds_write_b128 v99, v[69:72]
	ds_write_b128 v99, v[65:68] offset:6400
	ds_write_b128 v99, v[61:64] offset:12800
	;; [unrolled: 1-line block ×19, first 2 shown]
	s_waitcnt lgkmcnt(0)
	s_barrier
	ds_read_b128 v[0:3], v99
	ds_read_b128 v[4:7], v99 offset:12800
	ds_read_b128 v[8:11], v99 offset:25600
	s_waitcnt lgkmcnt(1)
	v_add_f64 v[13:14], v[0:1], v[4:5]
	s_waitcnt lgkmcnt(0)
	v_add_f64 v[23:24], v[4:5], -v[8:9]
	v_add_f64 v[25:26], v[8:9], -v[4:5]
	;; [unrolled: 1-line block ×4, first 2 shown]
	v_add_f64 v[17:18], v[13:14], v[8:9]
	v_add_f64 v[13:14], v[2:3], v[6:7]
	v_add_f64 v[19:20], v[13:14], v[10:11]
	ds_read_b128 v[13:16], v99 offset:38400
	s_waitcnt lgkmcnt(0)
	v_add_f64 v[21:22], v[8:9], v[13:14]
	v_add_f64 v[33:34], v[10:11], -v[15:16]
	v_add_f64 v[27:28], v[10:11], v[15:16]
	v_add_f64 v[35:36], v[8:9], -v[13:14]
	ds_read_b128 v[8:11], v99 offset:51200
	s_waitcnt lgkmcnt(0)
	v_add_f64 v[37:38], v[6:7], -v[10:11]
	v_add_f64 v[39:40], v[4:5], v[8:9]
	v_add_f64 v[41:42], v[4:5], -v[8:9]
	v_add_f64 v[43:44], v[6:7], v[10:11]
	v_add_f64 v[4:5], v[17:18], v[13:14]
	;; [unrolled: 1-line block ×3, first 2 shown]
	v_add_f64 v[45:46], v[8:9], -v[13:14]
	v_add_f64 v[47:48], v[13:14], -v[8:9]
	;; [unrolled: 1-line block ×4, first 2 shown]
	v_fma_f64 v[104:105], v[27:28], -0.5, v[2:3]
	v_fma_f64 v[27:28], v[43:44], -0.5, v[2:3]
	v_add_f64 v[53:54], v[4:5], v[8:9]
	v_add_f64 v[55:56], v[6:7], v[10:11]
	ds_read_b128 v[4:7], v99 offset:6400
	ds_read_b128 v[8:11], v99 offset:19200
	;; [unrolled: 1-line block ×3, first 2 shown]
	v_fma_f64 v[39:40], v[39:40], -0.5, v[0:1]
	v_add_f64 v[49:50], v[29:30], v[49:50]
	v_add_f64 v[29:30], v[31:32], v[51:52]
	s_waitcnt lgkmcnt(1)
	v_add_f64 v[17:18], v[4:5], v[8:9]
	s_waitcnt lgkmcnt(0)
	v_add_f64 v[65:66], v[8:9], -v[13:14]
	v_add_f64 v[67:68], v[13:14], -v[8:9]
	;; [unrolled: 1-line block ×4, first 2 shown]
	v_add_f64 v[45:46], v[23:24], v[45:46]
	v_add_f64 v[25:26], v[25:26], v[47:48]
	;; [unrolled: 1-line block ×5, first 2 shown]
	ds_read_b128 v[17:20], v99 offset:44800
	s_waitcnt lgkmcnt(0)
	v_add_f64 v[69:70], v[15:16], v[19:20]
	v_add_f64 v[61:62], v[13:14], v[17:18]
	v_add_f64 v[63:64], v[15:16], -v[19:20]
	v_add_f64 v[71:72], v[13:14], -v[17:18]
	ds_read_b128 v[13:16], v99 offset:57600
	v_fma_f64 v[69:70], v[69:70], -0.5, v[6:7]
	s_waitcnt lgkmcnt(0)
	v_add_f64 v[91:92], v[10:11], -v[15:16]
	v_add_f64 v[93:94], v[8:9], v[13:14]
	v_add_f64 v[95:96], v[8:9], -v[13:14]
	v_add_f64 v[8:9], v[10:11], v[15:16]
	v_add_f64 v[10:11], v[57:58], v[17:18]
	;; [unrolled: 1-line block ×3, first 2 shown]
	v_add_f64 v[59:60], v[13:14], -v[17:18]
	v_add_f64 v[17:18], v[17:18], -v[13:14]
	;; [unrolled: 1-line block ×3, first 2 shown]
	v_fma_f64 v[43:44], v[61:62], -0.5, v[4:5]
	v_fma_f64 v[61:62], v[93:94], -0.5, v[4:5]
	;; [unrolled: 1-line block ×3, first 2 shown]
	v_add_f64 v[10:11], v[10:11], v[13:14]
	v_add_f64 v[13:14], v[57:58], v[15:16]
	v_fma_f64 v[8:9], v[95:96], s[6:7], v[69:70]
	v_fma_f64 v[57:58], v[21:22], -0.5, v[0:1]
	v_add_f64 v[19:20], v[19:20], -v[15:16]
	v_add_f64 v[31:32], v[67:68], v[17:18]
	v_fma_f64 v[17:18], v[71:72], s[14:15], v[93:94]
	v_add_f64 v[0:1], v[53:54], v[10:11]
	v_add_f64 v[2:3], v[55:56], v[13:14]
	v_add_f64 v[4:5], v[53:54], -v[10:11]
	v_add_f64 v[6:7], v[55:56], -v[13:14]
	v_add_f64 v[55:56], v[87:88], v[97:98]
	v_fma_f64 v[8:9], v[71:72], s[8:9], v[8:9]
	v_fma_f64 v[10:11], v[91:92], s[14:15], v[43:44]
	v_add_f64 v[53:54], v[65:66], v[59:60]
	v_add_f64 v[47:48], v[89:90], v[19:20]
	v_fma_f64 v[17:18], v[95:96], s[8:9], v[17:18]
	v_fma_f64 v[19:20], v[63:64], s[6:7], v[61:62]
	;; [unrolled: 1-line block ×7, first 2 shown]
	v_mul_f64 v[13:14], v[8:9], s[16:17]
	v_fma_f64 v[10:11], v[53:54], s[12:13], v[10:11]
	v_fma_f64 v[19:20], v[31:32], s[12:13], v[19:20]
	;; [unrolled: 1-line block ×3, first 2 shown]
	v_mul_f64 v[10:11], v[10:11], s[8:9]
	v_fma_f64 v[13:14], v[41:42], s[6:7], v[104:105]
	v_fma_f64 v[10:11], v[8:9], s[20:21], v[10:11]
	;; [unrolled: 1-line block ×7, first 2 shown]
	v_add_f64 v[15:16], v[23:24], v[10:11]
	v_add_f64 v[10:11], v[23:24], -v[10:11]
	v_add_f64 v[13:14], v[8:9], v[21:22]
	v_add_f64 v[8:9], v[8:9], -v[21:22]
	v_mul_f64 v[21:22], v[17:18], s[14:15]
	v_mul_f64 v[17:18], v[17:18], s[12:13]
	v_fma_f64 v[21:22], v[19:20], s[12:13], v[21:22]
	v_fma_f64 v[23:24], v[19:20], s[6:7], v[17:18]
	;; [unrolled: 1-line block ×16, first 2 shown]
	v_add_f64 v[17:18], v[51:52], v[21:22]
	v_add_f64 v[21:22], v[51:52], -v[21:22]
	v_fma_f64 v[25:26], v[41:42], s[16:17], v[25:26]
	v_fma_f64 v[27:28], v[91:92], s[8:9], v[27:28]
	;; [unrolled: 1-line block ×3, first 2 shown]
	v_add_f64 v[19:20], v[59:60], v[23:24]
	v_add_f64 v[23:24], v[59:60], -v[23:24]
	v_fma_f64 v[51:52], v[29:30], s[12:13], v[25:26]
	v_fma_f64 v[25:26], v[71:72], s[6:7], v[93:94]
	;; [unrolled: 1-line block ×9, first 2 shown]
	v_mul_f64 v[29:30], v[25:26], s[14:15]
	v_mul_f64 v[25:26], v[25:26], s[18:19]
	v_fma_f64 v[29:30], v[27:28], s[18:19], v[29:30]
	v_fma_f64 v[31:32], v[27:28], s[6:7], v[25:26]
	v_add_f64 v[25:26], v[39:40], v[29:30]
	v_add_f64 v[29:30], v[39:40], -v[29:30]
	v_fma_f64 v[39:40], v[95:96], s[14:15], v[69:70]
	v_add_f64 v[27:28], v[51:52], v[31:32]
	v_add_f64 v[31:32], v[51:52], -v[31:32]
	v_fma_f64 v[39:40], v[71:72], s[16:17], v[39:40]
	v_fma_f64 v[39:40], v[55:56], s[12:13], v[39:40]
	v_mul_f64 v[35:36], v[39:40], s[16:17]
	v_mul_f64 v[37:38], v[39:40], s[22:23]
	v_fma_f64 v[39:40], v[33:34], s[22:23], v[35:36]
	v_fma_f64 v[45:46], v[33:34], s[8:9], v[37:38]
	v_add_f64 v[33:34], v[41:42], v[39:40]
	v_add_f64 v[35:36], v[43:44], v[45:46]
	v_add_f64 v[37:38], v[41:42], -v[39:40]
	v_add_f64 v[39:40], v[43:44], -v[45:46]
	ds_read_b128 v[41:44], v99 offset:3200
	ds_read_b128 v[45:48], v99 offset:9600
	ds_read_b128 v[49:52], v99 offset:16000
	ds_read_b128 v[53:56], v99 offset:22400
	ds_read_b128 v[57:60], v99 offset:28800
	ds_read_b128 v[61:64], v99 offset:35200
	ds_read_b128 v[65:68], v99 offset:41600
	ds_read_b128 v[69:72], v99 offset:48000
	ds_read_b128 v[87:90], v99 offset:54400
	ds_read_b128 v[91:94], v99 offset:60800
	s_waitcnt lgkmcnt(0)
	s_barrier
	ds_write_b128 v129, v[0:3]
	ds_write_b128 v129, v[13:16] offset:16
	ds_write_b128 v129, v[17:20] offset:32
	;; [unrolled: 1-line block ×9, first 2 shown]
	v_add_f64 v[2:3], v[43:44], v[51:52]
	v_add_f64 v[0:1], v[41:42], v[49:50]
	;; [unrolled: 1-line block ×3, first 2 shown]
	v_add_f64 v[35:36], v[57:58], -v[65:66]
	v_add_f64 v[21:22], v[87:88], -v[65:66]
	;; [unrolled: 1-line block ×5, first 2 shown]
	v_add_f64 v[2:3], v[2:3], v[59:60]
	v_add_f64 v[0:1], v[0:1], v[57:58]
	v_add_f64 v[17:18], v[57:58], -v[49:50]
	v_add_f64 v[6:7], v[59:60], v[67:68]
	v_add_f64 v[10:11], v[51:52], -v[59:60]
	v_add_f64 v[19:20], v[59:60], -v[51:52]
	;; [unrolled: 1-line block ×3, first 2 shown]
	v_add_f64 v[13:14], v[49:50], v[87:88]
	v_add_f64 v[2:3], v[2:3], v[67:68]
	;; [unrolled: 1-line block ×4, first 2 shown]
	v_add_f64 v[39:40], v[49:50], -v[87:88]
	v_add_f64 v[15:16], v[51:52], v[89:90]
	v_add_f64 v[25:26], v[89:90], -v[67:68]
	v_add_f64 v[27:28], v[67:68], -v[89:90]
	v_add_f64 v[49:50], v[61:62], v[69:70]
	v_add_f64 v[31:32], v[2:3], v[89:90]
	;; [unrolled: 1-line block ×5, first 2 shown]
	v_add_f64 v[51:52], v[63:64], -v[71:72]
	v_add_f64 v[57:58], v[53:54], -v[61:62]
	;; [unrolled: 1-line block ×5, first 2 shown]
	v_add_f64 v[2:3], v[2:3], v[63:64]
	v_add_f64 v[63:64], v[63:64], -v[55:56]
	v_add_f64 v[89:90], v[53:54], v[91:92]
	v_add_f64 v[53:54], v[53:54], -v[91:92]
	v_add_f64 v[55:56], v[55:56], v[93:94]
	v_fma_f64 v[65:66], v[65:66], -0.5, v[47:48]
	v_add_f64 v[0:1], v[0:1], v[61:62]
	v_add_f64 v[61:62], v[61:62], -v[69:70]
	v_add_f64 v[97:98], v[93:94], -v[71:72]
	v_fma_f64 v[49:50], v[49:50], -0.5, v[45:46]
	v_add_f64 v[95:96], v[91:92], -v[69:70]
	v_fma_f64 v[45:46], v[89:90], -0.5, v[45:46]
	v_fma_f64 v[47:48], v[55:56], -0.5, v[47:48]
	v_add_f64 v[55:56], v[8:9], v[21:22]
	v_fma_f64 v[8:9], v[53:54], s[6:7], v[65:66]
	v_add_f64 v[89:90], v[10:11], v[25:26]
	v_add_f64 v[67:68], v[67:68], v[97:98]
	v_fma_f64 v[10:11], v[87:88], s[14:15], v[49:50]
	v_add_f64 v[57:58], v[57:58], v[95:96]
	v_fma_f64 v[104:105], v[4:5], -0.5, v[41:42]
	v_fma_f64 v[41:42], v[13:14], -0.5, v[41:42]
	;; [unrolled: 1-line block ×3, first 2 shown]
	v_fma_f64 v[8:9], v[61:62], s[8:9], v[8:9]
	v_fma_f64 v[43:44], v[15:16], -0.5, v[43:44]
	v_add_f64 v[2:3], v[2:3], v[71:72]
	v_fma_f64 v[10:11], v[51:52], s[16:17], v[10:11]
	v_add_f64 v[0:1], v[0:1], v[69:70]
	v_add_f64 v[71:72], v[71:72], -v[93:94]
	v_add_f64 v[69:70], v[69:70], -v[91:92]
	v_add_f64 v[27:28], v[19:20], v[27:28]
	v_fma_f64 v[8:9], v[67:68], s[12:13], v[8:9]
	v_fma_f64 v[19:20], v[51:52], s[6:7], v[45:46]
	v_add_f64 v[93:94], v[2:3], v[93:94]
	v_fma_f64 v[10:11], v[57:58], s[12:13], v[10:11]
	v_add_f64 v[91:92], v[0:1], v[91:92]
	v_mul_f64 v[13:14], v[8:9], s[16:17]
	v_fma_f64 v[19:20], v[87:88], s[16:17], v[19:20]
	v_add_f64 v[2:3], v[31:32], v[93:94]
	v_add_f64 v[6:7], v[31:32], -v[93:94]
	v_add_f64 v[31:32], v[63:64], v[71:72]
	v_add_f64 v[0:1], v[29:30], v[91:92]
	v_add_f64 v[4:5], v[29:30], -v[91:92]
	v_add_f64 v[29:30], v[59:60], v[69:70]
	v_fma_f64 v[13:14], v[10:11], s[20:21], v[13:14]
	v_mul_f64 v[10:11], v[10:11], s[8:9]
	v_fma_f64 v[19:20], v[29:30], s[12:13], v[19:20]
	v_fma_f64 v[15:16], v[8:9], s[20:21], v[10:11]
	v_fma_f64 v[10:11], v[39:40], s[6:7], v[106:107]
	v_fma_f64 v[8:9], v[37:38], s[14:15], v[104:105]
	v_fma_f64 v[10:11], v[35:36], s[8:9], v[10:11]
	v_fma_f64 v[8:9], v[33:34], s[16:17], v[8:9]
	v_fma_f64 v[25:26], v[89:90], s[12:13], v[10:11]
	v_fma_f64 v[21:22], v[55:56], s[12:13], v[8:9]
	v_add_f64 v[10:11], v[25:26], v[15:16]
	v_add_f64 v[15:16], v[25:26], -v[15:16]
	v_add_f64 v[25:26], v[17:18], v[23:24]
	v_fma_f64 v[17:18], v[61:62], s[14:15], v[47:48]
	v_add_f64 v[8:9], v[21:22], v[13:14]
	v_add_f64 v[13:14], v[21:22], -v[13:14]
	v_fma_f64 v[17:18], v[53:54], s[8:9], v[17:18]
	v_fma_f64 v[17:18], v[31:32], s[12:13], v[17:18]
	v_mul_f64 v[21:22], v[17:18], s[14:15]
	v_mul_f64 v[17:18], v[17:18], s[12:13]
	v_fma_f64 v[21:22], v[19:20], s[12:13], v[21:22]
	v_fma_f64 v[23:24], v[19:20], s[6:7], v[17:18]
	;; [unrolled: 1-line block ×14, first 2 shown]
	v_add_f64 v[17:18], v[59:60], v[21:22]
	v_add_f64 v[21:22], v[59:60], -v[21:22]
	v_fma_f64 v[25:26], v[39:40], s[16:17], v[25:26]
	v_fma_f64 v[39:40], v[39:40], s[14:15], v[106:107]
	v_add_f64 v[19:20], v[63:64], v[23:24]
	v_add_f64 v[23:24], v[63:64], -v[23:24]
	v_fma_f64 v[43:44], v[27:28], s[12:13], v[25:26]
	v_fma_f64 v[25:26], v[61:62], s[6:7], v[47:48]
	;; [unrolled: 1-line block ×8, first 2 shown]
	v_mul_f64 v[29:30], v[25:26], s[14:15]
	v_mul_f64 v[25:26], v[25:26], s[18:19]
	v_fma_f64 v[29:30], v[27:28], s[18:19], v[29:30]
	v_fma_f64 v[31:32], v[27:28], s[6:7], v[25:26]
	v_add_f64 v[25:26], v[41:42], v[29:30]
	v_add_f64 v[29:30], v[41:42], -v[29:30]
	v_fma_f64 v[41:42], v[53:54], s[14:15], v[65:66]
	v_add_f64 v[27:28], v[43:44], v[31:32]
	v_add_f64 v[31:32], v[43:44], -v[31:32]
	v_fma_f64 v[43:44], v[87:88], s[6:7], v[49:50]
	v_fma_f64 v[41:42], v[61:62], s[16:17], v[41:42]
	;; [unrolled: 1-line block ×7, first 2 shown]
	v_mul_f64 v[35:36], v[39:40], s[16:17]
	v_mul_f64 v[37:38], v[39:40], s[22:23]
	v_fma_f64 v[39:40], v[33:34], s[22:23], v[35:36]
	v_fma_f64 v[45:46], v[33:34], s[8:9], v[37:38]
	v_add_f64 v[33:34], v[41:42], v[39:40]
	v_add_f64 v[35:36], v[43:44], v[45:46]
	v_add_f64 v[37:38], v[41:42], -v[39:40]
	v_add_f64 v[39:40], v[43:44], -v[45:46]
	ds_write_b128 v128, v[0:3]
	ds_write_b128 v128, v[8:11] offset:16
	ds_write_b128 v128, v[17:20] offset:32
	;; [unrolled: 1-line block ×9, first 2 shown]
	s_waitcnt lgkmcnt(0)
	s_barrier
	ds_read_b128 v[0:3], v99 offset:6400
	buffer_load_dword v6, off, s[36:39], 0 offset:524 ; 4-byte Folded Reload
	buffer_load_dword v7, off, s[36:39], 0 offset:528 ; 4-byte Folded Reload
	buffer_load_dword v8, off, s[36:39], 0 offset:532 ; 4-byte Folded Reload
	buffer_load_dword v9, off, s[36:39], 0 offset:536 ; 4-byte Folded Reload
	s_waitcnt vmcnt(0) lgkmcnt(0)
	v_mul_f64 v[4:5], v[8:9], v[2:3]
	v_fma_f64 v[52:53], v[6:7], v[0:1], v[4:5]
	v_mul_f64 v[0:1], v[8:9], v[0:1]
	v_fma_f64 v[54:55], v[6:7], v[2:3], -v[0:1]
	ds_read_b128 v[0:3], v99 offset:12800
	buffer_load_dword v6, off, s[36:39], 0 offset:508 ; 4-byte Folded Reload
	buffer_load_dword v7, off, s[36:39], 0 offset:512 ; 4-byte Folded Reload
	buffer_load_dword v8, off, s[36:39], 0 offset:516 ; 4-byte Folded Reload
	buffer_load_dword v9, off, s[36:39], 0 offset:520 ; 4-byte Folded Reload
	s_waitcnt vmcnt(0) lgkmcnt(0)
	v_mul_f64 v[4:5], v[8:9], v[2:3]
	v_fma_f64 v[16:17], v[6:7], v[0:1], v[4:5]
	v_mul_f64 v[0:1], v[8:9], v[0:1]
	v_fma_f64 v[62:63], v[6:7], v[2:3], -v[0:1]
	;; [unrolled: 10-line block ×5, first 2 shown]
	ds_read_b128 v[0:3], v99 offset:38400
	buffer_load_dword v6, off, s[36:39], 0 offset:444 ; 4-byte Folded Reload
	buffer_load_dword v7, off, s[36:39], 0 offset:448 ; 4-byte Folded Reload
	;; [unrolled: 1-line block ×4, first 2 shown]
	s_waitcnt vmcnt(0) lgkmcnt(0)
	v_mul_f64 v[4:5], v[8:9], v[2:3]
	v_fma_f64 v[91:92], v[6:7], v[0:1], v[4:5]
	v_mul_f64 v[0:1], v[8:9], v[0:1]
	v_add_f64 v[80:81], v[68:69], -v[91:92]
	v_fma_f64 v[93:94], v[6:7], v[2:3], -v[0:1]
	ds_read_b128 v[0:3], v99 offset:44800
	buffer_load_dword v6, off, s[36:39], 0 offset:428 ; 4-byte Folded Reload
	buffer_load_dword v7, off, s[36:39], 0 offset:432 ; 4-byte Folded Reload
	buffer_load_dword v8, off, s[36:39], 0 offset:436 ; 4-byte Folded Reload
	buffer_load_dword v9, off, s[36:39], 0 offset:440 ; 4-byte Folded Reload
	v_add_f64 v[12:13], v[70:71], -v[93:94]
	s_waitcnt vmcnt(0) lgkmcnt(0)
	v_mul_f64 v[4:5], v[8:9], v[2:3]
	v_fma_f64 v[95:96], v[6:7], v[0:1], v[4:5]
	v_mul_f64 v[0:1], v[8:9], v[0:1]
	v_fma_f64 v[97:98], v[6:7], v[2:3], -v[0:1]
	ds_read_b128 v[0:3], v99 offset:51200
	buffer_load_dword v6, off, s[36:39], 0 offset:412 ; 4-byte Folded Reload
	buffer_load_dword v7, off, s[36:39], 0 offset:416 ; 4-byte Folded Reload
	buffer_load_dword v8, off, s[36:39], 0 offset:420 ; 4-byte Folded Reload
	buffer_load_dword v9, off, s[36:39], 0 offset:424 ; 4-byte Folded Reload
	v_add_f64 v[14:15], v[89:90], -v[97:98]
	s_waitcnt vmcnt(0) lgkmcnt(0)
	v_mul_f64 v[4:5], v[8:9], v[2:3]
	v_fma_f64 v[104:105], v[6:7], v[0:1], v[4:5]
	v_mul_f64 v[0:1], v[8:9], v[0:1]
	;; [unrolled: 11-line block ×3, first 2 shown]
	v_fma_f64 v[110:111], v[6:7], v[2:3], -v[0:1]
	ds_read_b128 v[0:3], v99 offset:9600
	buffer_load_dword v6, off, s[36:39], 0 offset:396 ; 4-byte Folded Reload
	buffer_load_dword v7, off, s[36:39], 0 offset:400 ; 4-byte Folded Reload
	buffer_load_dword v8, off, s[36:39], 0 offset:404 ; 4-byte Folded Reload
	buffer_load_dword v9, off, s[36:39], 0 offset:408 ; 4-byte Folded Reload
	s_waitcnt vmcnt(0) lgkmcnt(0)
	v_mul_f64 v[4:5], v[8:9], v[2:3]
	v_fma_f64 v[100:101], v[6:7], v[0:1], v[4:5]
	v_mul_f64 v[0:1], v[8:9], v[0:1]
	v_fma_f64 v[78:79], v[6:7], v[2:3], -v[0:1]
	ds_read_b128 v[0:3], v99 offset:16000
	buffer_load_dword v6, off, s[36:39], 0 offset:380 ; 4-byte Folded Reload
	buffer_load_dword v7, off, s[36:39], 0 offset:384 ; 4-byte Folded Reload
	buffer_load_dword v8, off, s[36:39], 0 offset:388 ; 4-byte Folded Reload
	buffer_load_dword v9, off, s[36:39], 0 offset:392 ; 4-byte Folded Reload
	s_waitcnt vmcnt(0) lgkmcnt(0)
	v_mul_f64 v[4:5], v[8:9], v[2:3]
	v_fma_f64 v[82:83], v[6:7], v[0:1], v[4:5]
	v_mul_f64 v[0:1], v[8:9], v[0:1]
	;; [unrolled: 10-line block ×4, first 2 shown]
	v_fma_f64 v[30:31], v[6:7], v[2:3], -v[0:1]
	ds_read_b128 v[0:3], v99 offset:35200
	v_add_f64 v[6:7], v[54:55], v[66:67]
	s_waitcnt lgkmcnt(0)
	v_mul_f64 v[4:5], v[146:147], v[2:3]
	v_add_f64 v[6:7], v[6:7], v[89:90]
	v_fma_f64 v[34:35], v[144:145], v[0:1], v[4:5]
	v_mul_f64 v[0:1], v[146:147], v[0:1]
	v_add_f64 v[146:147], v[64:65], -v[108:109]
	v_add_f64 v[6:7], v[6:7], v[97:98]
	v_fma_f64 v[32:33], v[144:145], v[2:3], -v[0:1]
	ds_read_b128 v[0:3], v99 offset:41600
	v_add_f64 v[6:7], v[6:7], v[110:111]
	s_waitcnt lgkmcnt(0)
	v_mul_f64 v[4:5], v[142:143], v[2:3]
	v_fma_f64 v[38:39], v[140:141], v[0:1], v[4:5]
	v_mul_f64 v[0:1], v[142:143], v[0:1]
	v_fma_f64 v[40:41], v[140:141], v[2:3], -v[0:1]
	ds_read_b128 v[0:3], v99 offset:48000
	s_waitcnt lgkmcnt(0)
	v_mul_f64 v[4:5], v[138:139], v[2:3]
	v_fma_f64 v[42:43], v[136:137], v[0:1], v[4:5]
	v_mul_f64 v[0:1], v[138:139], v[0:1]
	v_fma_f64 v[36:37], v[136:137], v[2:3], -v[0:1]
	ds_read_b128 v[0:3], v99 offset:54400
	;; [unrolled: 6-line block ×3, first 2 shown]
	s_waitcnt lgkmcnt(0)
	v_mul_f64 v[4:5], v[162:163], v[2:3]
	v_fma_f64 v[50:51], v[160:161], v[0:1], v[4:5]
	v_mul_f64 v[0:1], v[162:163], v[0:1]
	v_add_f64 v[4:5], v[68:69], v[91:92]
	v_add_f64 v[162:163], v[66:67], -v[110:111]
	v_fma_f64 v[48:49], v[160:161], v[2:3], -v[0:1]
	ds_read_b128 v[0:3], v99
	v_add_f64 v[160:161], v[87:88], -v[95:96]
	s_waitcnt lgkmcnt(0)
	v_fma_f64 v[56:57], v[4:5], -0.5, v[0:1]
	v_add_f64 v[4:5], v[16:17], v[104:105]
	v_fma_f64 v[128:129], v[4:5], -0.5, v[0:1]
	v_add_f64 v[4:5], v[70:71], v[93:94]
	v_add_f64 v[0:1], v[0:1], v[16:17]
	v_fma_f64 v[130:131], v[4:5], -0.5, v[2:3]
	v_add_f64 v[4:5], v[62:63], v[106:107]
	;; [unrolled: 3-line block ×3, first 2 shown]
	v_add_f64 v[4:5], v[52:53], v[64:65]
	v_add_f64 v[0:1], v[0:1], v[91:92]
	;; [unrolled: 1-line block ×11, first 2 shown]
	v_add_f64 v[74:75], v[8:9], -v[4:5]
	v_add_f64 v[76:77], v[10:11], -v[6:7]
	;; [unrolled: 1-line block ×5, first 2 shown]
	v_add_f64 v[134:135], v[8:9], v[10:11]
	v_add_f64 v[8:9], v[62:63], -v[70:71]
	v_add_f64 v[10:11], v[106:107], -v[93:94]
	v_add_f64 v[136:137], v[8:9], v[10:11]
	v_add_f64 v[8:9], v[64:65], -v[87:88]
	v_add_f64 v[10:11], v[108:109], -v[95:96]
	;; [unrolled: 3-line block ×3, first 2 shown]
	v_add_f64 v[140:141], v[8:9], v[10:11]
	v_add_f64 v[8:9], v[87:88], v[95:96]
	v_fma_f64 v[142:143], v[8:9], -0.5, v[52:53]
	v_add_f64 v[8:9], v[89:90], v[97:98]
	v_fma_f64 v[10:11], v[162:163], s[14:15], v[142:143]
	v_fma_f64 v[144:145], v[8:9], -0.5, v[54:55]
	v_fma_f64 v[2:3], v[14:15], s[16:17], v[10:11]
	v_fma_f64 v[8:9], v[146:147], s[6:7], v[144:145]
	;; [unrolled: 1-line block ×5, first 2 shown]
	v_mul_f64 v[10:11], v[8:9], s[16:17]
	v_mul_f64 v[8:9], v[8:9], s[20:21]
	v_fma_f64 v[10:11], v[2:3], s[20:21], v[10:11]
	v_fma_f64 v[2:3], v[2:3], s[8:9], v[8:9]
	;; [unrolled: 1-line block ×7, first 2 shown]
	v_add_f64 v[58:59], v[6:7], v[10:11]
	v_fma_f64 v[0:1], v[136:137], s[12:13], v[8:9]
	v_add_f64 v[8:9], v[6:7], -v[10:11]
	v_add_f64 v[6:7], v[70:71], -v[62:63]
	;; [unrolled: 1-line block ×3, first 2 shown]
	v_add_f64 v[66:67], v[66:67], v[110:111]
	v_add_f64 v[62:63], v[87:88], -v[64:65]
	v_add_f64 v[64:65], v[64:65], v[108:109]
	v_add_f64 v[86:87], v[97:98], -v[110:111]
	;; [unrolled: 2-line block ×3, first 2 shown]
	v_add_f64 v[0:1], v[68:69], -v[16:17]
	v_add_f64 v[2:3], v[91:92], -v[104:105]
	;; [unrolled: 1-line block ×3, first 2 shown]
	v_fma_f64 v[66:67], v[66:67], -0.5, v[54:55]
	v_add_f64 v[68:69], v[95:96], -v[108:109]
	ds_read_b128 v[104:107], v99 offset:3200
	s_waitcnt lgkmcnt(0)
	s_barrier
	v_add_f64 v[0:1], v[0:1], v[2:3]
	v_add_f64 v[2:3], v[6:7], v[16:17]
	v_fma_f64 v[6:7], v[64:65], -0.5, v[52:53]
	v_fma_f64 v[52:53], v[160:161], s[14:15], v[66:67]
	v_add_f64 v[16:17], v[62:63], v[68:69]
	v_add_f64 v[68:69], v[70:71], v[86:87]
	v_fma_f64 v[66:67], v[160:161], s[6:7], v[66:67]
	v_fma_f64 v[54:55], v[14:15], s[6:7], v[6:7]
	;; [unrolled: 1-line block ×10, first 2 shown]
	v_mul_f64 v[62:63], v[52:53], s[14:15]
	v_mul_f64 v[52:53], v[52:53], s[12:13]
	v_fma_f64 v[6:7], v[16:17], s[12:13], v[6:7]
	v_mul_f64 v[16:17], v[66:67], s[14:15]
	v_mul_f64 v[66:67], v[66:67], s[18:19]
	v_fma_f64 v[62:63], v[54:55], s[12:13], v[62:63]
	v_fma_f64 v[64:65], v[54:55], s[6:7], v[52:53]
	;; [unrolled: 1-line block ×10, first 2 shown]
	v_add_f64 v[52:53], v[70:71], v[62:63]
	v_add_f64 v[62:63], v[70:71], -v[62:63]
	v_fma_f64 v[70:71], v[12:13], s[14:15], v[128:129]
	v_add_f64 v[54:55], v[86:87], v[64:65]
	v_add_f64 v[64:65], v[86:87], -v[64:65]
	v_fma_f64 v[70:71], v[84:85], s[8:9], v[70:71]
	v_fma_f64 v[0:1], v[0:1], s[12:13], v[70:71]
	;; [unrolled: 1-line block ×3, first 2 shown]
	v_add_f64 v[66:67], v[0:1], v[16:17]
	v_fma_f64 v[70:71], v[4:5], s[16:17], v[70:71]
	v_add_f64 v[87:88], v[0:1], -v[16:17]
	v_fma_f64 v[0:1], v[146:147], s[14:15], v[144:145]
	v_fma_f64 v[4:5], v[4:5], s[14:15], v[130:131]
	;; [unrolled: 1-line block ×5, first 2 shown]
	v_add_f64 v[80:81], v[34:35], -v[42:43]
	v_add_f64 v[68:69], v[2:3], v[6:7]
	v_add_f64 v[89:90], v[2:3], -v[6:7]
	v_fma_f64 v[6:7], v[162:163], s[6:7], v[142:143]
	v_fma_f64 v[2:3], v[84:85], s[6:7], v[56:57]
	;; [unrolled: 1-line block ×4, first 2 shown]
	v_add_f64 v[84:85], v[72:73], -v[48:49]
	v_fma_f64 v[6:7], v[14:15], s[8:9], v[6:7]
	v_fma_f64 v[2:3], v[12:13], s[8:9], v[2:3]
	v_mul_f64 v[12:13], v[0:1], s[16:17]
	v_mul_f64 v[0:1], v[0:1], s[22:23]
	v_fma_f64 v[6:7], v[138:139], s[12:13], v[6:7]
	v_fma_f64 v[2:3], v[134:135], s[12:13], v[2:3]
	;; [unrolled: 1-line block ×4, first 2 shown]
	v_add_f64 v[6:7], v[78:79], v[72:73]
	v_add_f64 v[93:94], v[4:5], v[0:1]
	v_add_f64 v[97:98], v[4:5], -v[0:1]
	v_add_f64 v[0:1], v[28:29], v[38:39]
	v_add_f64 v[91:92], v[2:3], v[12:13]
	v_add_f64 v[95:96], v[2:3], -v[12:13]
	ds_write_b128 v119, v[19:22]
	ds_write_b128 v119, v[58:61] offset:160
	ds_write_b128 v119, v[52:55] offset:320
	;; [unrolled: 1-line block ×9, first 2 shown]
	v_add_f64 v[2:3], v[106:107], v[24:25]
	v_add_f64 v[4:5], v[100:101], v[26:27]
	v_fma_f64 v[56:57], v[0:1], -0.5, v[104:105]
	v_add_f64 v[0:1], v[82:83], v[44:45]
	v_add_f64 v[6:7], v[6:7], v[32:33]
	v_add_f64 v[76:77], v[26:27], -v[50:51]
	v_add_f64 v[86:87], v[32:33], -v[36:37]
	;; [unrolled: 1-line block ×3, first 2 shown]
	v_add_f64 v[2:3], v[2:3], v[30:31]
	v_add_f64 v[4:5], v[4:5], v[34:35]
	v_add_f64 v[90:91], v[30:31], -v[40:41]
	v_fma_f64 v[21:22], v[0:1], -0.5, v[104:105]
	v_add_f64 v[0:1], v[30:31], v[40:41]
	v_add_f64 v[6:7], v[6:7], v[36:37]
	v_add_f64 v[92:93], v[82:83], -v[44:45]
	v_add_f64 v[94:95], v[28:29], -v[38:39]
	v_add_f64 v[2:3], v[2:3], v[40:41]
	v_add_f64 v[4:5], v[4:5], v[42:43]
	v_fma_f64 v[58:59], v[0:1], -0.5, v[106:107]
	v_add_f64 v[0:1], v[24:25], v[46:47]
	v_add_f64 v[6:7], v[6:7], v[48:49]
	;; [unrolled: 1-line block ×4, first 2 shown]
	v_fma_f64 v[60:61], v[0:1], -0.5, v[106:107]
	v_add_f64 v[0:1], v[104:105], v[82:83]
	v_add_f64 v[2:3], v[10:11], v[6:7]
	v_add_f64 v[6:7], v[10:11], -v[6:7]
	v_add_f64 v[10:11], v[44:45], -v[38:39]
	v_add_f64 v[0:1], v[0:1], v[28:29]
	v_add_f64 v[0:1], v[0:1], v[38:39]
	;; [unrolled: 1-line block ×4, first 2 shown]
	v_add_f64 v[4:5], v[8:9], -v[4:5]
	v_add_f64 v[8:9], v[82:83], -v[28:29]
	v_add_f64 v[62:63], v[8:9], v[10:11]
	v_add_f64 v[8:9], v[24:25], -v[30:31]
	v_add_f64 v[10:11], v[46:47], -v[40:41]
	v_add_f64 v[64:65], v[8:9], v[10:11]
	;; [unrolled: 3-line block ×4, first 2 shown]
	v_add_f64 v[8:9], v[34:35], v[42:43]
	v_fma_f64 v[70:71], v[8:9], -0.5, v[100:101]
	v_add_f64 v[8:9], v[32:33], v[36:37]
	v_fma_f64 v[10:11], v[84:85], s[14:15], v[70:71]
	v_fma_f64 v[74:75], v[8:9], -0.5, v[78:79]
	v_fma_f64 v[10:11], v[86:87], s[16:17], v[10:11]
	v_fma_f64 v[8:9], v[76:77], s[6:7], v[74:75]
	;; [unrolled: 1-line block ×5, first 2 shown]
	v_mul_f64 v[12:13], v[8:9], s[16:17]
	v_mul_f64 v[8:9], v[8:9], s[20:21]
	v_fma_f64 v[12:13], v[10:11], s[20:21], v[12:13]
	v_fma_f64 v[14:15], v[10:11], s[8:9], v[8:9]
	;; [unrolled: 1-line block ×8, first 2 shown]
	v_add_f64 v[8:9], v[16:17], v[12:13]
	v_add_f64 v[52:53], v[16:17], -v[12:13]
	v_add_f64 v[12:13], v[28:29], -v[82:83]
	;; [unrolled: 1-line block ×4, first 2 shown]
	v_add_f64 v[31:32], v[72:73], v[48:49]
	v_add_f64 v[10:11], v[18:19], v[14:15]
	v_add_f64 v[54:55], v[18:19], -v[14:15]
	v_add_f64 v[14:15], v[38:39], -v[44:45]
	;; [unrolled: 1-line block ×3, first 2 shown]
	v_add_f64 v[25:26], v[26:27], v[50:51]
	v_add_f64 v[27:28], v[42:43], -v[50:51]
	v_add_f64 v[33:34], v[36:37], -v[48:49]
	v_fma_f64 v[31:32], v[31:32], -0.5, v[78:79]
	v_add_f64 v[18:19], v[40:41], -v[46:47]
	v_add_f64 v[35:36], v[12:13], v[14:15]
	v_fma_f64 v[25:26], v[25:26], -0.5, v[100:101]
	v_add_f64 v[23:24], v[23:24], v[27:28]
	v_add_f64 v[27:28], v[29:30], v[33:34]
	v_fma_f64 v[12:13], v[80:81], s[14:15], v[31:32]
	v_add_f64 v[37:38], v[16:17], v[18:19]
	v_fma_f64 v[14:15], v[86:87], s[6:7], v[25:26]
	v_fma_f64 v[25:26], v[86:87], s[14:15], v[25:26]
	;; [unrolled: 1-line block ×8, first 2 shown]
	v_mul_f64 v[16:17], v[12:13], s[14:15]
	v_mul_f64 v[12:13], v[12:13], s[12:13]
	v_fma_f64 v[17:18], v[14:15], s[12:13], v[16:17]
	v_fma_f64 v[19:20], v[14:15], s[6:7], v[12:13]
	;; [unrolled: 1-line block ×10, first 2 shown]
	v_add_f64 v[13:14], v[29:30], v[17:18]
	v_add_f64 v[17:18], v[29:30], -v[17:18]
	v_fma_f64 v[29:30], v[35:36], s[12:13], v[21:22]
	v_fma_f64 v[21:22], v[94:95], s[6:7], v[60:61]
	v_add_f64 v[15:16], v[33:34], v[19:20]
	v_add_f64 v[19:20], v[33:34], -v[19:20]
	v_fma_f64 v[35:36], v[84:85], s[6:7], v[70:71]
	v_fma_f64 v[21:22], v[92:93], s[16:17], v[21:22]
	;; [unrolled: 1-line block ×11, first 2 shown]
	v_mul_f64 v[25:26], v[21:22], s[14:15]
	v_mul_f64 v[21:22], v[21:22], s[18:19]
	v_fma_f64 v[25:26], v[23:24], s[18:19], v[25:26]
	v_fma_f64 v[27:28], v[23:24], s[6:7], v[21:22]
	v_add_f64 v[21:22], v[29:30], v[25:26]
	v_add_f64 v[25:26], v[29:30], -v[25:26]
	v_fma_f64 v[29:30], v[76:77], s[14:15], v[74:75]
	v_add_f64 v[23:24], v[33:34], v[27:28]
	v_add_f64 v[27:28], v[33:34], -v[27:28]
	v_fma_f64 v[33:34], v[92:93], s[14:15], v[58:59]
	v_fma_f64 v[29:30], v[80:81], s[16:17], v[29:30]
	;; [unrolled: 1-line block ×5, first 2 shown]
	v_mul_f64 v[33:34], v[29:30], s[16:17]
	v_mul_f64 v[29:30], v[29:30], s[22:23]
	v_fma_f64 v[33:34], v[31:32], s[22:23], v[33:34]
	v_fma_f64 v[35:36], v[31:32], s[8:9], v[29:30]
	v_add_f64 v[29:30], v[37:38], v[33:34]
	v_add_f64 v[31:32], v[39:40], v[35:36]
	v_add_f64 v[33:34], v[37:38], -v[33:34]
	v_add_f64 v[35:36], v[39:40], -v[35:36]
	ds_write_b128 v118, v[0:3]
	ds_write_b128 v118, v[8:11] offset:160
	ds_write_b128 v118, v[13:16] offset:320
	;; [unrolled: 1-line block ×9, first 2 shown]
	s_waitcnt lgkmcnt(0)
	s_barrier
	ds_read_b128 v[0:3], v99 offset:6400
	ds_read_b128 v[4:7], v99 offset:12800
	buffer_load_dword v8, off, s[36:39], 0 offset:588 ; 4-byte Folded Reload
	buffer_load_dword v9, off, s[36:39], 0 offset:592 ; 4-byte Folded Reload
	buffer_load_dword v10, off, s[36:39], 0 offset:596 ; 4-byte Folded Reload
	buffer_load_dword v11, off, s[36:39], 0 offset:600 ; 4-byte Folded Reload
	s_waitcnt vmcnt(2)
	v_mov_b32_e32 v26, v9
	s_waitcnt vmcnt(0) lgkmcnt(1)
	v_mul_f64 v[17:18], v[10:11], v[2:3]
	v_mul_f64 v[19:20], v[10:11], v[0:1]
	v_mov_b32_e32 v25, v8
	ds_read_b128 v[8:11], v99 offset:19200
	buffer_load_dword v12, off, s[36:39], 0 offset:572 ; 4-byte Folded Reload
	buffer_load_dword v13, off, s[36:39], 0 offset:576 ; 4-byte Folded Reload
	buffer_load_dword v14, off, s[36:39], 0 offset:580 ; 4-byte Folded Reload
	buffer_load_dword v15, off, s[36:39], 0 offset:584 ; 4-byte Folded Reload
	v_fma_f64 v[17:18], v[25:26], v[0:1], v[17:18]
	v_fma_f64 v[19:20], v[25:26], v[2:3], -v[19:20]
	s_waitcnt vmcnt(2)
	v_mov_b32_e32 v30, v13
	s_waitcnt vmcnt(0) lgkmcnt(1)
	v_mul_f64 v[21:22], v[14:15], v[6:7]
	v_mul_f64 v[23:24], v[14:15], v[4:5]
	v_mov_b32_e32 v29, v12
	ds_read_b128 v[13:16], v99 offset:25600
	buffer_load_dword v0, off, s[36:39], 0 offset:556 ; 4-byte Folded Reload
	buffer_load_dword v1, off, s[36:39], 0 offset:560 ; 4-byte Folded Reload
	buffer_load_dword v2, off, s[36:39], 0 offset:564 ; 4-byte Folded Reload
	buffer_load_dword v3, off, s[36:39], 0 offset:568 ; 4-byte Folded Reload
	v_fma_f64 v[21:22], v[29:30], v[4:5], v[21:22]
	v_fma_f64 v[23:24], v[29:30], v[6:7], -v[23:24]
	;; [unrolled: 13-line block ×3, first 2 shown]
	s_waitcnt lgkmcnt(0)
	v_mul_f64 v[33:34], v[182:183], v[2:3]
	v_mul_f64 v[35:36], v[182:183], v[0:1]
	ds_read_b128 v[8:11], v99 offset:44800
	v_fma_f64 v[70:71], v[180:181], v[0:1], v[33:34]
	v_fma_f64 v[72:73], v[180:181], v[2:3], -v[35:36]
	s_waitcnt lgkmcnt(0)
	v_mul_f64 v[33:34], v[174:175], v[10:11]
	v_mul_f64 v[35:36], v[174:175], v[8:9]
	ds_read_b128 v[0:3], v99 offset:57600
	v_fma_f64 v[78:79], v[172:173], v[8:9], v[33:34]
	v_fma_f64 v[80:81], v[172:173], v[10:11], -v[35:36]
	s_waitcnt lgkmcnt(0)
	v_mul_f64 v[33:34], v[186:187], v[2:3]
	v_mul_f64 v[35:36], v[186:187], v[0:1]
	ds_read_b128 v[8:11], v99 offset:16000
	s_waitcnt lgkmcnt(0)
	v_mul_f64 v[39:40], v[210:211], v[8:9]
	v_fma_f64 v[86:87], v[184:185], v[0:1], v[33:34]
	v_fma_f64 v[88:89], v[184:185], v[2:3], -v[35:36]
	v_mul_f64 v[34:35], v[210:211], v[10:11]
	ds_read_b128 v[0:3], v99 offset:28800
	v_fma_f64 v[50:51], v[208:209], v[10:11], -v[39:40]
	s_waitcnt lgkmcnt(0)
	v_mul_f64 v[44:45], v[202:203], v[0:1]
	v_fma_f64 v[60:61], v[208:209], v[8:9], v[34:35]
	ds_read_b128 v[8:11], v99 offset:41600
	s_waitcnt lgkmcnt(0)
	v_mul_f64 v[54:55], v[218:219], v[8:9]
	v_fma_f64 v[52:53], v[200:201], v[2:3], -v[44:45]
	v_mul_f64 v[46:47], v[218:219], v[10:11]
	v_fma_f64 v[56:57], v[216:217], v[10:11], -v[54:55]
	v_fma_f64 v[62:63], v[216:217], v[8:9], v[46:47]
	ds_read_b128 v[8:11], v99 offset:60800
	s_waitcnt lgkmcnt(0)
	v_mul_f64 v[90:91], v[194:195], v[8:9]
	s_waitcnt vmcnt(0)
	v_mul_f64 v[29:30], v[6:7], v[15:16]
	v_mul_f64 v[31:32], v[6:7], v[13:14]
	v_mov_b32_e32 v38, v5
	v_mov_b32_e32 v37, v4
	ds_read_b128 v[4:7], v99 offset:38400
	v_fma_f64 v[29:30], v[37:38], v[13:14], v[29:30]
	v_fma_f64 v[68:69], v[37:38], v[15:16], -v[31:32]
	s_waitcnt lgkmcnt(0)
	v_mul_f64 v[31:32], v[178:179], v[6:7]
	v_mul_f64 v[37:38], v[178:179], v[4:5]
	ds_read_b128 v[13:16], v99 offset:51200
	v_add_f64 v[94:95], v[29:30], -v[21:22]
	v_fma_f64 v[74:75], v[176:177], v[4:5], v[31:32]
	v_fma_f64 v[76:77], v[176:177], v[6:7], -v[37:38]
	s_waitcnt lgkmcnt(0)
	v_mul_f64 v[31:32], v[170:171], v[15:16]
	v_mul_f64 v[37:38], v[170:171], v[13:14]
	ds_read_b128 v[4:7], v99 offset:9600
	v_add_f64 v[92:93], v[68:69], -v[76:77]
	;; [unrolled: 7-line block ×3, first 2 shown]
	s_waitcnt lgkmcnt(0)
	v_mul_f64 v[42:43], v[206:207], v[13:14]
	v_fma_f64 v[48:49], v[188:189], v[4:5], v[31:32]
	v_fma_f64 v[32:33], v[188:189], v[6:7], -v[37:38]
	v_mul_f64 v[36:37], v[206:207], v[15:16]
	ds_read_b128 v[4:7], v99 offset:35200
	v_mul_f64 v[38:39], v[202:203], v[2:3]
	v_fma_f64 v[34:35], v[204:205], v[15:16], -v[42:43]
	s_waitcnt lgkmcnt(0)
	v_mul_f64 v[42:43], v[214:215], v[4:5]
	v_fma_f64 v[40:41], v[204:205], v[13:14], v[36:37]
	v_mul_f64 v[36:37], v[214:215], v[6:7]
	ds_read_b128 v[13:16], v99 offset:48000
	v_fma_f64 v[58:59], v[200:201], v[0:1], v[38:39]
	ds_read_b128 v[0:3], v99 offset:54400
	v_fma_f64 v[38:39], v[212:213], v[6:7], -v[42:43]
	s_waitcnt lgkmcnt(1)
	v_mul_f64 v[42:43], v[222:223], v[13:14]
	v_fma_f64 v[44:45], v[212:213], v[4:5], v[36:37]
	v_mul_f64 v[36:37], v[222:223], v[15:16]
	s_waitcnt lgkmcnt(0)
	v_mul_f64 v[54:55], v[198:199], v[2:3]
	ds_read_b128 v[4:7], v99
	v_fma_f64 v[46:47], v[220:221], v[13:14], v[36:37]
	v_fma_f64 v[36:37], v[220:221], v[15:16], -v[42:43]
	s_waitcnt lgkmcnt(0)
	v_add_f64 v[12:13], v[4:5], v[21:22]
	v_mul_f64 v[14:15], v[198:199], v[0:1]
	v_add_f64 v[42:43], v[29:30], v[74:75]
	v_fma_f64 v[66:67], v[196:197], v[0:1], v[54:55]
	v_add_f64 v[0:1], v[21:22], v[82:83]
	v_mul_f64 v[54:55], v[194:195], v[10:11]
	v_add_f64 v[12:13], v[12:13], v[29:30]
	v_fma_f64 v[64:65], v[196:197], v[2:3], -v[14:15]
	v_fma_f64 v[2:3], v[42:43], -0.5, v[4:5]
	v_add_f64 v[14:15], v[23:24], -v[84:85]
	v_fma_f64 v[0:1], v[0:1], -0.5, v[4:5]
	v_fma_f64 v[54:55], v[192:193], v[8:9], v[54:55]
	v_fma_f64 v[42:43], v[192:193], v[10:11], -v[90:91]
	v_add_f64 v[8:9], v[21:22], -v[29:30]
	v_add_f64 v[4:5], v[12:13], v[74:75]
	v_add_f64 v[10:11], v[82:83], -v[74:75]
	v_add_f64 v[21:22], v[21:22], -v[82:83]
	v_fma_f64 v[12:13], v[14:15], s[14:15], v[2:3]
	v_fma_f64 v[2:3], v[14:15], s[6:7], v[2:3]
	;; [unrolled: 1-line block ×4, first 2 shown]
	v_add_f64 v[100:101], v[4:5], v[82:83]
	v_add_f64 v[4:5], v[8:9], v[10:11]
	;; [unrolled: 1-line block ×3, first 2 shown]
	v_fma_f64 v[10:11], v[92:93], s[16:17], v[12:13]
	v_fma_f64 v[2:3], v[92:93], s[8:9], v[2:3]
	v_fma_f64 v[12:13], v[14:15], s[16:17], v[90:91]
	v_add_f64 v[90:91], v[94:95], v[96:97]
	v_add_f64 v[94:95], v[23:24], v[84:85]
	v_add_f64 v[92:93], v[6:7], v[23:24]
	v_fma_f64 v[0:1], v[14:15], s[8:9], v[0:1]
	v_fma_f64 v[8:9], v[8:9], -0.5, v[6:7]
	v_fma_f64 v[10:11], v[4:5], s[12:13], v[10:11]
	v_fma_f64 v[82:83], v[4:5], s[12:13], v[2:3]
	v_add_f64 v[2:3], v[29:30], -v[74:75]
	v_fma_f64 v[29:30], v[90:91], s[12:13], v[12:13]
	v_fma_f64 v[4:5], v[94:95], -0.5, v[6:7]
	v_add_f64 v[6:7], v[92:93], v[68:69]
	v_add_f64 v[14:15], v[23:24], -v[68:69]
	v_fma_f64 v[12:13], v[21:22], s[6:7], v[8:9]
	v_add_f64 v[74:75], v[84:85], -v[76:77]
	v_fma_f64 v[8:9], v[21:22], s[14:15], v[8:9]
	v_add_f64 v[23:24], v[68:69], -v[23:24]
	v_add_f64 v[68:69], v[76:77], -v[84:85]
	v_fma_f64 v[90:91], v[90:91], s[12:13], v[0:1]
	v_add_f64 v[0:1], v[6:7], v[76:77]
	v_add_f64 v[6:7], v[70:71], v[78:79]
	v_fma_f64 v[92:93], v[2:3], s[14:15], v[4:5]
	v_fma_f64 v[12:13], v[2:3], s[8:9], v[12:13]
	v_add_f64 v[14:15], v[14:15], v[74:75]
	v_fma_f64 v[8:9], v[2:3], s[16:17], v[8:9]
	v_add_f64 v[23:24], v[23:24], v[68:69]
	;; [unrolled: 2-line block ×3, first 2 shown]
	v_fma_f64 v[6:7], v[6:7], -0.5, v[17:18]
	v_add_f64 v[68:69], v[27:28], -v[88:89]
	v_fma_f64 v[74:75], v[21:22], s[8:9], v[92:93]
	v_add_f64 v[76:77], v[0:1], v[84:85]
	v_fma_f64 v[84:85], v[14:15], s[12:13], v[12:13]
	v_fma_f64 v[93:94], v[14:15], s[12:13], v[8:9]
	v_add_f64 v[0:1], v[25:26], v[86:87]
	v_fma_f64 v[2:3], v[21:22], s[16:17], v[2:3]
	v_add_f64 v[4:5], v[4:5], v[70:71]
	v_fma_f64 v[8:9], v[68:69], s[14:15], v[6:7]
	v_add_f64 v[12:13], v[72:73], -v[80:81]
	v_add_f64 v[95:96], v[78:79], -v[86:87]
	v_fma_f64 v[74:75], v[23:24], s[12:13], v[74:75]
	v_add_f64 v[14:15], v[25:26], -v[70:71]
	v_fma_f64 v[0:1], v[0:1], -0.5, v[17:18]
	v_add_f64 v[16:17], v[70:71], -v[25:26]
	v_fma_f64 v[97:98], v[23:24], s[12:13], v[2:3]
	v_add_f64 v[2:3], v[4:5], v[78:79]
	v_fma_f64 v[4:5], v[12:13], s[16:17], v[8:9]
	v_add_f64 v[8:9], v[72:73], v[80:81]
	v_add_f64 v[21:22], v[86:87], -v[78:79]
	v_fma_f64 v[6:7], v[68:69], s[6:7], v[6:7]
	v_add_f64 v[23:24], v[27:28], v[88:89]
	v_add_f64 v[16:17], v[16:17], v[95:96]
	v_add_f64 v[25:26], v[25:26], -v[86:87]
	v_add_f64 v[78:79], v[70:71], -v[78:79]
	;; [unrolled: 1-line block ×3, first 2 shown]
	v_fma_f64 v[8:9], v[8:9], -0.5, v[19:20]
	v_add_f64 v[95:96], v[88:89], -v[80:81]
	v_add_f64 v[14:15], v[14:15], v[21:22]
	v_fma_f64 v[6:7], v[12:13], s[8:9], v[6:7]
	v_fma_f64 v[21:22], v[12:13], s[6:7], v[0:1]
	;; [unrolled: 1-line block ×3, first 2 shown]
	v_add_f64 v[12:13], v[19:20], v[27:28]
	v_fma_f64 v[18:19], v[23:24], -0.5, v[19:20]
	v_add_f64 v[23:24], v[72:73], -v[27:28]
	v_add_f64 v[27:28], v[80:81], -v[88:89]
	v_add_f64 v[95:96], v[70:71], v[95:96]
	v_fma_f64 v[70:71], v[25:26], s[6:7], v[8:9]
	v_fma_f64 v[20:21], v[68:69], s[16:17], v[21:22]
	;; [unrolled: 1-line block ×3, first 2 shown]
	v_add_f64 v[12:13], v[12:13], v[72:73]
	v_fma_f64 v[72:73], v[14:15], s[12:13], v[4:5]
	v_fma_f64 v[4:5], v[25:26], s[14:15], v[8:9]
	v_add_f64 v[23:24], v[23:24], v[27:28]
	v_fma_f64 v[27:28], v[78:79], s[14:15], v[18:19]
	v_fma_f64 v[18:19], v[78:79], s[6:7], v[18:19]
	;; [unrolled: 1-line block ×4, first 2 shown]
	v_add_f64 v[12:13], v[12:13], v[80:81]
	v_add_f64 v[2:3], v[2:3], v[86:87]
	v_fma_f64 v[4:5], v[78:79], s[16:17], v[4:5]
	v_fma_f64 v[78:79], v[14:15], s[12:13], v[6:7]
	;; [unrolled: 1-line block ×5, first 2 shown]
	ds_read_b128 v[68:71], v99 offset:3200
	v_add_f64 v[80:81], v[12:13], v[88:89]
	v_add_f64 v[12:13], v[100:101], v[2:3]
	v_fma_f64 v[88:89], v[95:96], s[12:13], v[4:5]
	buffer_load_dword v110, off, s[36:39], 0 offset:320 ; 4-byte Folded Reload
	buffer_load_dword v111, off, s[36:39], 0 offset:324 ; 4-byte Folded Reload
	v_fma_f64 v[27:28], v[23:24], s[12:13], v[27:28]
	v_fma_f64 v[18:19], v[23:24], s[12:13], v[18:19]
	v_mul_f64 v[6:7], v[102:103], s[20:21]
	v_mul_f64 v[20:21], v[102:103], s[16:17]
	v_fma_f64 v[24:25], v[16:17], s[12:13], v[0:1]
	v_add_f64 v[16:17], v[100:101], -v[2:3]
	v_add_f64 v[100:101], v[50:51], -v[64:65]
	s_waitcnt lgkmcnt(0)
	v_mul_f64 v[22:23], v[27:28], s[14:15]
	v_mul_f64 v[14:15], v[27:28], s[12:13]
	v_fma_f64 v[26:27], v[72:73], s[8:9], v[6:7]
	v_mul_f64 v[6:7], v[18:19], s[18:19]
	v_mul_f64 v[0:1], v[18:19], s[14:15]
	v_fma_f64 v[20:21], v[72:73], s[20:21], v[20:21]
	v_add_f64 v[18:19], v[76:77], -v[80:81]
	s_waitcnt vmcnt(0)
	s_barrier
	v_fma_f64 v[22:23], v[8:9], s[12:13], v[22:23]
	v_fma_f64 v[72:73], v[8:9], s[6:7], v[14:15]
	v_add_f64 v[14:15], v[76:77], v[80:81]
	v_add_f64 v[76:77], v[58:59], v[62:63]
	v_fma_f64 v[95:96], v[24:25], s[6:7], v[6:7]
	v_fma_f64 v[86:87], v[24:25], s[18:19], v[0:1]
	v_add_f64 v[4:5], v[10:11], v[20:21]
	v_mul_f64 v[80:81], v[88:89], s[16:17]
	v_add_f64 v[0:1], v[29:30], v[22:23]
	v_add_f64 v[6:7], v[84:85], v[26:27]
	v_add_f64 v[24:25], v[10:11], -v[20:21]
	v_add_f64 v[26:27], v[84:85], -v[26:27]
	v_add_f64 v[84:85], v[68:69], v[60:61]
	v_fma_f64 v[76:77], v[76:77], -0.5, v[68:69]
	v_add_f64 v[10:11], v[97:98], v[95:96]
	v_mul_f64 v[88:89], v[88:89], s[22:23]
	v_add_f64 v[28:29], v[29:30], -v[22:23]
	v_add_f64 v[22:23], v[97:98], -v[95:96]
	v_add_f64 v[95:96], v[60:61], v[66:67]
	v_add_f64 v[8:9], v[90:91], v[86:87]
	;; [unrolled: 1-line block ×3, first 2 shown]
	v_add_f64 v[20:21], v[90:91], -v[86:87]
	v_add_f64 v[30:31], v[74:75], -v[72:73]
	v_add_f64 v[72:73], v[84:85], v[58:59]
	v_fma_f64 v[74:75], v[100:101], s[14:15], v[76:77]
	v_add_f64 v[84:85], v[52:53], -v[56:57]
	v_add_f64 v[86:87], v[60:61], -v[58:59]
	;; [unrolled: 1-line block ×3, first 2 shown]
	v_fma_f64 v[76:77], v[100:101], s[6:7], v[76:77]
	v_fma_f64 v[80:81], v[78:79], s[22:23], v[80:81]
	;; [unrolled: 1-line block ×3, first 2 shown]
	v_fma_f64 v[68:69], v[95:96], -0.5, v[68:69]
	v_add_f64 v[72:73], v[72:73], v[62:63]
	v_fma_f64 v[74:75], v[84:85], s[16:17], v[74:75]
	v_add_f64 v[97:98], v[86:87], v[90:91]
	v_fma_f64 v[76:77], v[84:85], s[8:9], v[76:77]
	v_add_f64 v[87:88], v[82:83], v[80:81]
	v_add_f64 v[89:90], v[93:94], v[78:79]
	v_add_f64 v[91:92], v[82:83], -v[80:81]
	v_add_f64 v[93:94], v[93:94], -v[78:79]
	v_fma_f64 v[78:79], v[84:85], s[6:7], v[68:69]
	v_fma_f64 v[68:69], v[84:85], s[14:15], v[68:69]
	v_add_f64 v[82:83], v[70:71], v[50:51]
	v_add_f64 v[84:85], v[52:53], v[56:57]
	;; [unrolled: 1-line block ×3, first 2 shown]
	v_add_f64 v[80:81], v[58:59], -v[60:61]
	v_add_f64 v[60:61], v[60:61], -v[66:67]
	;; [unrolled: 1-line block ×3, first 2 shown]
	v_fma_f64 v[78:79], v[100:101], s[16:17], v[78:79]
	v_fma_f64 v[68:69], v[100:101], s[8:9], v[68:69]
	v_add_f64 v[82:83], v[82:83], v[52:53]
	v_fma_f64 v[84:85], v[84:85], -0.5, v[70:71]
	v_add_f64 v[58:59], v[58:59], -v[62:63]
	v_fma_f64 v[74:75], v[97:98], s[12:13], v[74:75]
	v_fma_f64 v[76:77], v[97:98], s[12:13], v[76:77]
	v_add_f64 v[66:67], v[80:81], v[66:67]
	v_add_f64 v[80:81], v[50:51], v[64:65]
	v_add_f64 v[62:63], v[50:51], -v[52:53]
	v_add_f64 v[82:83], v[82:83], v[56:57]
	v_fma_f64 v[95:96], v[60:61], s[6:7], v[84:85]
	v_fma_f64 v[84:85], v[60:61], s[14:15], v[84:85]
	v_add_f64 v[97:98], v[44:45], v[46:47]
	v_add_f64 v[50:51], v[52:53], -v[50:51]
	v_fma_f64 v[78:79], v[66:67], s[12:13], v[78:79]
	v_fma_f64 v[70:71], v[80:81], -0.5, v[70:71]
	v_add_f64 v[80:81], v[64:65], -v[56:57]
	v_fma_f64 v[66:67], v[66:67], s[12:13], v[68:69]
	v_add_f64 v[68:69], v[82:83], v[64:65]
	v_fma_f64 v[82:83], v[58:59], s[8:9], v[95:96]
	v_add_f64 v[95:96], v[48:49], v[40:41]
	v_add_f64 v[52:53], v[56:57], -v[64:65]
	v_fma_f64 v[64:65], v[97:98], -0.5, v[48:49]
	v_fma_f64 v[56:57], v[58:59], s[6:7], v[70:71]
	v_add_f64 v[62:63], v[62:63], v[80:81]
	v_fma_f64 v[80:81], v[58:59], s[16:17], v[84:85]
	v_fma_f64 v[84:85], v[58:59], s[14:15], v[70:71]
	v_add_f64 v[70:71], v[34:35], -v[42:43]
	v_add_f64 v[58:59], v[95:96], v[44:45]
	v_add_f64 v[50:51], v[50:51], v[52:53]
	v_add_f64 v[95:96], v[40:41], -v[44:45]
	v_fma_f64 v[52:53], v[60:61], s[16:17], v[56:57]
	v_fma_f64 v[82:83], v[62:63], s[12:13], v[82:83]
	;; [unrolled: 1-line block ×5, first 2 shown]
	v_add_f64 v[56:57], v[58:59], v[46:47]
	v_add_f64 v[58:59], v[40:41], v[54:55]
	v_add_f64 v[84:85], v[38:39], -v[36:37]
	v_fma_f64 v[64:65], v[70:71], s[6:7], v[64:65]
	v_fma_f64 v[102:103], v[50:51], s[12:13], v[52:53]
	v_add_f64 v[97:98], v[54:55], -v[46:47]
	v_fma_f64 v[100:101], v[50:51], s[12:13], v[62:63]
	v_add_f64 v[62:63], v[42:43], -v[36:37]
	v_add_f64 v[50:51], v[56:57], v[54:55]
	v_fma_f64 v[48:49], v[58:59], -0.5, v[48:49]
	v_fma_f64 v[52:53], v[84:85], s[16:17], v[60:61]
	v_add_f64 v[60:61], v[34:35], -v[38:39]
	v_fma_f64 v[58:59], v[84:85], s[8:9], v[64:65]
	v_add_f64 v[56:57], v[95:96], v[97:98]
	v_fma_f64 v[64:65], v[84:85], s[6:7], v[48:49]
	v_fma_f64 v[48:49], v[84:85], s[14:15], v[48:49]
	v_add_f64 v[84:85], v[44:45], -v[40:41]
	v_add_f64 v[40:41], v[40:41], -v[54:55]
	;; [unrolled: 1-line block ×4, first 2 shown]
	v_add_f64 v[46:47], v[38:39], v[36:37]
	v_add_f64 v[60:61], v[60:61], v[62:63]
	;; [unrolled: 1-line block ×3, first 2 shown]
	v_fma_f64 v[48:49], v[70:71], s[8:9], v[48:49]
	v_add_f64 v[54:55], v[84:85], v[54:55]
	v_fma_f64 v[46:47], v[46:47], -0.5, v[32:33]
	v_fma_f64 v[62:63], v[62:63], -0.5, v[32:33]
	v_add_f64 v[32:33], v[32:33], v[34:35]
	v_fma_f64 v[48:49], v[54:55], s[12:13], v[48:49]
	v_add_f64 v[95:96], v[32:33], v[38:39]
	v_add_f64 v[32:33], v[38:39], -v[34:35]
	v_fma_f64 v[34:35], v[40:41], s[6:7], v[46:47]
	v_fma_f64 v[38:39], v[40:41], s[14:15], v[46:47]
	;; [unrolled: 1-line block ×6, first 2 shown]
	v_add_f64 v[62:63], v[36:37], -v[42:43]
	v_fma_f64 v[46:47], v[40:41], s[8:9], v[46:47]
	v_add_f64 v[36:37], v[95:96], v[36:37]
	v_fma_f64 v[38:39], v[60:61], s[12:13], v[38:39]
	v_fma_f64 v[40:41], v[40:41], s[16:17], v[44:45]
	v_add_f64 v[62:63], v[32:33], v[62:63]
	v_fma_f64 v[44:45], v[56:57], s[12:13], v[52:53]
	v_fma_f64 v[52:53], v[60:61], s[12:13], v[34:35]
	;; [unrolled: 1-line block ×4, first 2 shown]
	v_mad_u64_u32 v[32:33], s[10:11], s2, v110, 0
	v_fma_f64 v[46:47], v[62:63], s[12:13], v[46:47]
	v_fma_f64 v[40:41], v[62:63], s[12:13], v[40:41]
	v_mul_f64 v[58:59], v[52:53], s[16:17]
	v_fma_f64 v[60:61], v[54:55], s[12:13], v[34:35]
	v_add_f64 v[62:63], v[36:37], v[42:43]
	v_mul_f64 v[42:43], v[38:39], s[16:17]
	v_mul_f64 v[52:53], v[52:53], s[20:21]
	v_add_f64 v[34:35], v[72:73], v[50:51]
	v_mul_f64 v[54:55], v[46:47], s[14:15]
	v_mul_f64 v[36:37], v[40:41], s[14:15]
	;; [unrolled: 1-line block ×4, first 2 shown]
	v_fma_f64 v[58:59], v[44:45], s[20:21], v[58:59]
	v_fma_f64 v[84:85], v[56:57], s[22:23], v[42:43]
	;; [unrolled: 1-line block ×3, first 2 shown]
	v_add_f64 v[50:51], v[72:73], -v[50:51]
	v_fma_f64 v[64:65], v[60:61], s[12:13], v[54:55]
	v_mul_f64 v[54:55], v[38:39], s[22:23]
	v_fma_f64 v[70:71], v[48:49], s[18:19], v[36:37]
	v_fma_f64 v[97:98], v[60:61], s[6:7], v[46:47]
	;; [unrolled: 1-line block ×3, first 2 shown]
	v_add_f64 v[38:39], v[74:75], v[58:59]
	v_add_f64 v[36:37], v[68:69], v[62:63]
	v_add_f64 v[52:53], v[68:69], -v[62:63]
	v_add_f64 v[42:43], v[78:79], v[64:65]
	v_fma_f64 v[108:109], v[56:57], s[8:9], v[54:55]
	v_add_f64 v[46:47], v[66:67], v[70:71]
	v_add_f64 v[54:55], v[76:77], v[84:85]
	;; [unrolled: 1-line block ×5, first 2 shown]
	v_add_f64 v[58:59], v[74:75], -v[58:59]
	v_add_f64 v[62:63], v[78:79], -v[64:65]
	v_add_f64 v[56:57], v[80:81], v[108:109]
	v_add_f64 v[66:67], v[66:67], -v[70:71]
	v_add_f64 v[60:61], v[82:83], -v[95:96]
	;; [unrolled: 1-line block ×6, first 2 shown]
	ds_write_b128 v112, v[12:15]
	ds_write_b128 v112, v[4:7] offset:1600
	ds_write_b128 v112, v[0:3] offset:3200
	;; [unrolled: 1-line block ×9, first 2 shown]
	ds_write_b128 v117, v[34:37]
	ds_write_b128 v117, v[38:41] offset:1600
	ds_write_b128 v117, v[42:45] offset:3200
	;; [unrolled: 1-line block ×9, first 2 shown]
	s_waitcnt lgkmcnt(0)
	s_barrier
	ds_read_b128 v[0:3], v99
	ds_read_b128 v[4:7], v99 offset:16000
	ds_read_b128 v[8:11], v99 offset:32000
	;; [unrolled: 1-line block ×15, first 2 shown]
	s_waitcnt lgkmcnt(14)
	v_mul_f64 v[29:30], v[230:231], v[6:7]
	v_mul_f64 v[74:75], v[230:231], v[4:5]
	s_waitcnt lgkmcnt(13)
	v_mul_f64 v[76:77], v[234:235], v[10:11]
	v_mul_f64 v[78:79], v[234:235], v[8:9]
	;; [unrolled: 3-line block ×4, first 2 shown]
	v_fma_f64 v[4:5], v[228:229], v[4:5], v[29:30]
	v_fma_f64 v[6:7], v[228:229], v[6:7], -v[74:75]
	v_fma_f64 v[8:9], v[232:233], v[8:9], v[76:77]
	v_fma_f64 v[10:11], v[232:233], v[10:11], -v[78:79]
	v_mul_f64 v[29:30], v[226:227], v[15:16]
	v_mul_f64 v[74:75], v[226:227], v[13:14]
	;; [unrolled: 1-line block ×4, first 2 shown]
	v_fma_f64 v[25:26], v[248:249], v[25:26], v[80:81]
	v_fma_f64 v[27:28], v[248:249], v[27:28], -v[82:83]
	s_waitcnt lgkmcnt(4)
	v_mul_f64 v[80:81], v[166:167], v[52:53]
	v_mul_f64 v[82:83], v[166:167], v[50:51]
	v_fma_f64 v[12:13], v[224:225], v[13:14], v[29:30]
	v_fma_f64 v[14:15], v[224:225], v[15:16], -v[74:75]
	v_fma_f64 v[21:22], v[236:237], v[21:22], v[76:77]
	v_fma_f64 v[23:24], v[236:237], v[23:24], -v[78:79]
	;; [unrolled: 2-line block ×3, first 2 shown]
	v_mul_f64 v[36:37], v[242:243], v[44:45]
	v_mul_f64 v[74:75], v[242:243], v[42:43]
	;; [unrolled: 1-line block ×4, first 2 shown]
	s_waitcnt lgkmcnt(2)
	v_mul_f64 v[84:85], v[158:159], v[60:61]
	v_mul_f64 v[100:101], v[158:159], v[58:59]
	ds_read_b128 v[70:73], v99 offset:12800
	ds_read_b128 v[87:90], v99 offset:28800
	;; [unrolled: 1-line block ×4, first 2 shown]
	v_fma_f64 v[36:37], v[240:241], v[42:43], v[36:37]
	v_fma_f64 v[42:43], v[240:241], v[44:45], -v[74:75]
	v_fma_f64 v[44:45], v[252:253], v[46:47], v[76:77]
	v_fma_f64 v[46:47], v[252:253], v[48:49], -v[78:79]
	;; [unrolled: 2-line block ×4, first 2 shown]
	s_waitcnt lgkmcnt(5)
	v_mul_f64 v[60:61], v[150:151], v[64:65]
	v_mul_f64 v[74:75], v[150:151], v[62:63]
	s_waitcnt lgkmcnt(4)
	v_mul_f64 v[76:77], v[126:127], v[68:69]
	v_mul_f64 v[78:79], v[126:127], v[66:67]
	v_add_f64 v[80:81], v[0:1], -v[8:9]
	v_add_f64 v[82:83], v[2:3], -v[10:11]
	;; [unrolled: 1-line block ×4, first 2 shown]
	v_fma_f64 v[60:61], v[148:149], v[62:63], v[60:61]
	v_fma_f64 v[62:63], v[148:149], v[64:65], -v[74:75]
	v_fma_f64 v[64:65], v[124:125], v[66:67], v[76:77]
	v_fma_f64 v[66:67], v[124:125], v[68:69], -v[78:79]
	v_fma_f64 v[12:13], v[0:1], 2.0, -v[80:81]
	v_fma_f64 v[14:15], v[2:3], 2.0, -v[82:83]
	;; [unrolled: 1-line block ×4, first 2 shown]
	s_waitcnt lgkmcnt(2)
	v_mul_f64 v[4:5], v[154:155], v[89:90]
	v_mul_f64 v[6:7], v[154:155], v[87:88]
	s_waitcnt lgkmcnt(1)
	v_mul_f64 v[68:69], v[122:123], v[93:94]
	v_mul_f64 v[74:75], v[122:123], v[91:92]
	s_waitcnt lgkmcnt(0)
	v_mul_f64 v[76:77], v[115:116], v[97:98]
	v_mul_f64 v[78:79], v[115:116], v[95:96]
	v_add_f64 v[0:1], v[12:13], -v[0:1]
	v_add_f64 v[2:3], v[14:15], -v[2:3]
	v_fma_f64 v[84:85], v[152:153], v[87:88], v[4:5]
	v_fma_f64 v[86:87], v[152:153], v[89:90], -v[6:7]
	v_fma_f64 v[68:69], v[120:121], v[91:92], v[68:69]
	v_fma_f64 v[74:75], v[120:121], v[93:94], -v[74:75]
	v_add_f64 v[88:89], v[17:18], -v[25:26]
	v_add_f64 v[90:91], v[19:20], -v[27:28]
	;; [unrolled: 1-line block ×6, first 2 shown]
	v_fma_f64 v[76:77], v[113:114], v[95:96], v[76:77]
	v_fma_f64 v[78:79], v[113:114], v[97:98], -v[78:79]
	v_fma_f64 v[6:7], v[14:15], 2.0, -v[2:3]
	v_add_f64 v[29:30], v[38:39], -v[44:45]
	v_fma_f64 v[34:35], v[17:18], 2.0, -v[88:89]
	v_fma_f64 v[44:45], v[19:20], 2.0, -v[90:91]
	v_fma_f64 v[15:16], v[23:24], 2.0, -v[27:28]
	v_fma_f64 v[94:95], v[40:41], 2.0, -v[92:93]
	v_fma_f64 v[23:24], v[42:43], 2.0, -v[46:47]
	v_add_f64 v[8:9], v[80:81], v[8:9]
	v_add_f64 v[10:11], v[82:83], -v[10:11]
	v_add_f64 v[17:18], v[88:89], v[27:28]
	v_add_f64 v[19:20], v[90:91], -v[25:26]
	v_fma_f64 v[4:5], v[12:13], 2.0, -v[0:1]
	v_add_f64 v[48:49], v[36:37], -v[48:49]
	v_fma_f64 v[12:13], v[21:22], 2.0, -v[25:26]
	v_fma_f64 v[50:51], v[38:39], 2.0, -v[29:30]
	v_add_f64 v[15:16], v[44:45], -v[15:16]
	v_add_f64 v[23:24], v[94:95], -v[23:24]
	v_fma_f64 v[25:26], v[80:81], 2.0, -v[8:9]
	v_fma_f64 v[27:28], v[82:83], 2.0, -v[10:11]
	;; [unrolled: 1-line block ×4, first 2 shown]
	v_add_f64 v[80:81], v[54:55], -v[60:61]
	v_add_f64 v[82:83], v[56:57], -v[62:63]
	;; [unrolled: 1-line block ×8, first 2 shown]
	v_fma_f64 v[21:22], v[36:37], 2.0, -v[48:49]
	v_fma_f64 v[36:37], v[44:45], 2.0, -v[15:16]
	;; [unrolled: 1-line block ×11, first 2 shown]
	v_add_f64 v[13:14], v[34:35], -v[12:13]
	v_add_f64 v[21:22], v[50:51], -v[21:22]
	v_add_f64 v[46:47], v[29:30], v[46:47]
	v_add_f64 v[48:49], v[92:93], -v[48:49]
	v_add_f64 v[54:55], v[74:75], -v[54:55]
	v_add_f64 v[56:57], v[76:77], -v[56:57]
	v_add_f64 v[58:59], v[80:81], v[62:63]
	v_add_f64 v[60:61], v[82:83], -v[60:61]
	;; [unrolled: 4-line block ×3, first 2 shown]
	v_fma_f64 v[34:35], v[34:35], 2.0, -v[13:14]
	v_fma_f64 v[42:43], v[50:51], 2.0, -v[21:22]
	;; [unrolled: 1-line block ×12, first 2 shown]
	ds_write_b128 v99, v[4:7]
	ds_write_b128 v99, v[25:28] offset:16000
	ds_write_b128 v99, v[0:3] offset:32000
	;; [unrolled: 1-line block ×19, first 2 shown]
	s_waitcnt lgkmcnt(0)
	s_barrier
	ds_read_b128 v[0:3], v99
	buffer_load_dword v10, off, s[36:39], 0 offset:48 ; 4-byte Folded Reload
	buffer_load_dword v11, off, s[36:39], 0 offset:52 ; 4-byte Folded Reload
	;; [unrolled: 1-line block ×4, first 2 shown]
	v_mov_b32_e32 v4, v33
	s_waitcnt vmcnt(0) lgkmcnt(0)
	v_mul_f64 v[5:6], v[12:13], v[2:3]
	v_mad_u64_u32 v[7:8], s[2:3], s3, v110, v[4:5]
	v_mul_f64 v[8:9], v[12:13], v[0:1]
	buffer_load_dword v12, off, s[36:39], 0 offset:328 ; 4-byte Folded Reload
	v_fma_f64 v[4:5], v[10:11], v[0:1], v[5:6]
	v_mov_b32_e32 v0, v10
	v_mov_b32_e32 v1, v11
	;; [unrolled: 1-line block ×3, first 2 shown]
	v_fma_f64 v[6:7], v[0:1], v[2:3], -v[8:9]
	s_waitcnt vmcnt(0)
	v_mad_u64_u32 v[10:11], s[2:3], s0, v12, 0
	s_mov_b32 s2, 0xd2f1a9fc
	s_mov_b32 s3, 0x3f30624d
	v_mov_b32_e32 v0, v11
	v_mad_u64_u32 v[8:9], s[6:7], s1, v12, v[0:1]
	ds_read_b128 v[0:3], v99 offset:6400
	buffer_load_dword v18, off, s[36:39], 0 offset:32 ; 4-byte Folded Reload
	buffer_load_dword v19, off, s[36:39], 0 offset:36 ; 4-byte Folded Reload
	buffer_load_dword v20, off, s[36:39], 0 offset:40 ; 4-byte Folded Reload
	buffer_load_dword v21, off, s[36:39], 0 offset:44 ; 4-byte Folded Reload
	v_mov_b32_e32 v11, v8
	v_lshlrev_b64 v[8:9], 4, v[32:33]
	v_mul_f64 v[4:5], v[4:5], s[2:3]
	v_mul_f64 v[6:7], v[6:7], s[2:3]
	v_add_co_u32_e32 v16, vcc, s4, v8
	v_mov_b32_e32 v8, s5
	v_addc_co_u32_e32 v17, vcc, v8, v9, vcc
	v_lshlrev_b64 v[8:9], 4, v[10:11]
	s_mul_i32 s4, s1, 0x1900
	s_mul_hi_u32 s5, s0, 0x1900
	s_add_i32 s4, s5, s4
	s_mul_i32 s5, s0, 0x1900
	s_mul_i32 s1, s1, 0xffff2b80
	s_waitcnt vmcnt(0) lgkmcnt(0)
	v_mul_f64 v[12:13], v[20:21], v[2:3]
	v_mul_f64 v[14:15], v[20:21], v[0:1]
	v_fma_f64 v[10:11], v[18:19], v[0:1], v[12:13]
	v_fma_f64 v[12:13], v[18:19], v[2:3], -v[14:15]
	v_add_co_u32_e32 v14, vcc, v16, v8
	v_addc_co_u32_e32 v15, vcc, v17, v9, vcc
	global_store_dwordx4 v[14:15], v[4:7], off
	ds_read_b128 v[0:3], v99 offset:12800
	v_mul_f64 v[4:5], v[10:11], s[2:3]
	v_mul_f64 v[6:7], v[12:13], s[2:3]
	buffer_load_dword v10, off, s[36:39], 0 offset:304 ; 4-byte Folded Reload
	buffer_load_dword v11, off, s[36:39], 0 offset:308 ; 4-byte Folded Reload
	;; [unrolled: 1-line block ×4, first 2 shown]
	v_add_co_u32_e32 v14, vcc, s5, v14
	s_waitcnt vmcnt(0) lgkmcnt(0)
	v_mul_f64 v[8:9], v[12:13], v[2:3]
	v_mov_b32_e32 v17, v11
	v_mul_f64 v[12:13], v[12:13], v[0:1]
	v_mov_b32_e32 v16, v10
	v_fma_f64 v[0:1], v[10:11], v[0:1], v[8:9]
	ds_read_b128 v[8:11], v99 offset:19200
	buffer_load_dword v18, off, s[36:39], 0 offset:288 ; 4-byte Folded Reload
	buffer_load_dword v19, off, s[36:39], 0 offset:292 ; 4-byte Folded Reload
	buffer_load_dword v20, off, s[36:39], 0 offset:296 ; 4-byte Folded Reload
	buffer_load_dword v21, off, s[36:39], 0 offset:300 ; 4-byte Folded Reload
	v_fma_f64 v[2:3], v[16:17], v[2:3], -v[12:13]
	v_mov_b32_e32 v12, s4
	v_addc_co_u32_e32 v15, vcc, v15, v12, vcc
	global_store_dwordx4 v[14:15], v[4:7], off
	ds_read_b128 v[4:7], v99 offset:25600
	v_mul_f64 v[0:1], v[0:1], s[2:3]
	v_add_co_u32_e32 v14, vcc, s5, v14
	v_mul_f64 v[2:3], v[2:3], s[2:3]
	s_waitcnt vmcnt(1) lgkmcnt(1)
	v_mul_f64 v[12:13], v[20:21], v[10:11]
	v_mul_f64 v[16:17], v[20:21], v[8:9]
	v_fma_f64 v[8:9], v[18:19], v[8:9], v[12:13]
	v_fma_f64 v[10:11], v[18:19], v[10:11], -v[16:17]
	buffer_load_dword v18, off, s[36:39], 0 offset:272 ; 4-byte Folded Reload
	buffer_load_dword v19, off, s[36:39], 0 offset:276 ; 4-byte Folded Reload
	buffer_load_dword v20, off, s[36:39], 0 offset:280 ; 4-byte Folded Reload
	buffer_load_dword v21, off, s[36:39], 0 offset:284 ; 4-byte Folded Reload
	v_mov_b32_e32 v16, s4
	v_addc_co_u32_e32 v15, vcc, v15, v16, vcc
	global_store_dwordx4 v[14:15], v[0:3], off
	v_add_co_u32_e32 v14, vcc, s5, v14
	v_mul_f64 v[0:1], v[8:9], s[2:3]
	v_mul_f64 v[2:3], v[10:11], s[2:3]
	ds_read_b128 v[8:11], v99 offset:32000
	s_waitcnt vmcnt(1) lgkmcnt(1)
	v_mul_f64 v[12:13], v[20:21], v[6:7]
	v_mul_f64 v[16:17], v[20:21], v[4:5]
	v_fma_f64 v[4:5], v[18:19], v[4:5], v[12:13]
	v_fma_f64 v[6:7], v[18:19], v[6:7], -v[16:17]
	buffer_load_dword v18, off, s[36:39], 0 offset:256 ; 4-byte Folded Reload
	buffer_load_dword v19, off, s[36:39], 0 offset:260 ; 4-byte Folded Reload
	buffer_load_dword v20, off, s[36:39], 0 offset:264 ; 4-byte Folded Reload
	buffer_load_dword v21, off, s[36:39], 0 offset:268 ; 4-byte Folded Reload
	v_mov_b32_e32 v12, s4
	v_addc_co_u32_e32 v15, vcc, v15, v12, vcc
	global_store_dwordx4 v[14:15], v[0:3], off
	v_add_co_u32_e32 v14, vcc, s5, v14
	v_mul_f64 v[0:1], v[4:5], s[2:3]
	v_mul_f64 v[2:3], v[6:7], s[2:3]
	ds_read_b128 v[4:7], v99 offset:38400
	;; [unrolled: 16-line block ×7, first 2 shown]
	s_waitcnt vmcnt(1) lgkmcnt(1)
	v_mul_f64 v[12:13], v[20:21], v[6:7]
	v_mul_f64 v[16:17], v[20:21], v[4:5]
	v_fma_f64 v[4:5], v[18:19], v[4:5], v[12:13]
	v_fma_f64 v[6:7], v[18:19], v[6:7], -v[16:17]
	buffer_load_dword v18, off, s[36:39], 0 offset:128 ; 4-byte Folded Reload
	buffer_load_dword v19, off, s[36:39], 0 offset:132 ; 4-byte Folded Reload
	;; [unrolled: 1-line block ×4, first 2 shown]
	v_mov_b32_e32 v12, s4
	v_addc_co_u32_e32 v15, vcc, v15, v12, vcc
	global_store_dwordx4 v[14:15], v[0:3], off
	s_waitcnt vmcnt(1) lgkmcnt(0)
	v_mul_f64 v[12:13], v[20:21], v[10:11]
	v_mul_f64 v[16:17], v[20:21], v[8:9]
	;; [unrolled: 1-line block ×3, first 2 shown]
	v_mov_b32_e32 v4, 0xffff2b80
	v_mul_f64 v[2:3], v[6:7], s[2:3]
	v_mad_u64_u32 v[14:15], s[6:7], s0, v4, v[14:15]
	ds_read_b128 v[4:7], v99 offset:16000
	v_fma_f64 v[8:9], v[18:19], v[8:9], v[12:13]
	v_fma_f64 v[10:11], v[18:19], v[10:11], -v[16:17]
	buffer_load_dword v18, off, s[36:39], 0 offset:112 ; 4-byte Folded Reload
	buffer_load_dword v19, off, s[36:39], 0 offset:116 ; 4-byte Folded Reload
	;; [unrolled: 1-line block ×4, first 2 shown]
	s_sub_i32 s0, s1, s0
	v_add_u32_e32 v15, s0, v15
	global_store_dwordx4 v[14:15], v[0:3], off
	v_add_co_u32_e32 v14, vcc, s5, v14
	v_mul_f64 v[0:1], v[8:9], s[2:3]
	v_mul_f64 v[2:3], v[10:11], s[2:3]
	ds_read_b128 v[8:11], v99 offset:22400
	s_waitcnt vmcnt(1) lgkmcnt(1)
	v_mul_f64 v[12:13], v[20:21], v[6:7]
	v_mul_f64 v[16:17], v[20:21], v[4:5]
	v_fma_f64 v[4:5], v[18:19], v[4:5], v[12:13]
	v_fma_f64 v[6:7], v[18:19], v[6:7], -v[16:17]
	buffer_load_dword v18, off, s[36:39], 0 offset:96 ; 4-byte Folded Reload
	buffer_load_dword v19, off, s[36:39], 0 offset:100 ; 4-byte Folded Reload
	buffer_load_dword v20, off, s[36:39], 0 offset:104 ; 4-byte Folded Reload
	buffer_load_dword v21, off, s[36:39], 0 offset:108 ; 4-byte Folded Reload
	v_mov_b32_e32 v12, s4
	v_addc_co_u32_e32 v15, vcc, v15, v12, vcc
	global_store_dwordx4 v[14:15], v[0:3], off
	v_add_co_u32_e32 v14, vcc, s5, v14
	v_mul_f64 v[0:1], v[4:5], s[2:3]
	v_mul_f64 v[2:3], v[6:7], s[2:3]
	ds_read_b128 v[4:7], v99 offset:28800
	s_waitcnt vmcnt(1) lgkmcnt(1)
	v_mul_f64 v[12:13], v[20:21], v[10:11]
	v_mul_f64 v[16:17], v[20:21], v[8:9]
	v_fma_f64 v[8:9], v[18:19], v[8:9], v[12:13]
	v_fma_f64 v[10:11], v[18:19], v[10:11], -v[16:17]
	buffer_load_dword v18, off, s[36:39], 0 offset:80 ; 4-byte Folded Reload
	buffer_load_dword v19, off, s[36:39], 0 offset:84 ; 4-byte Folded Reload
	buffer_load_dword v20, off, s[36:39], 0 offset:88 ; 4-byte Folded Reload
	buffer_load_dword v21, off, s[36:39], 0 offset:92 ; 4-byte Folded Reload
	v_mov_b32_e32 v16, s4
	v_addc_co_u32_e32 v15, vcc, v15, v16, vcc
	global_store_dwordx4 v[14:15], v[0:3], off
	v_add_co_u32_e32 v14, vcc, s5, v14
	v_mul_f64 v[0:1], v[8:9], s[2:3]
	v_mul_f64 v[2:3], v[10:11], s[2:3]
	ds_read_b128 v[8:11], v99 offset:35200
	s_waitcnt vmcnt(1) lgkmcnt(1)
	v_mul_f64 v[12:13], v[20:21], v[6:7]
	v_mul_f64 v[16:17], v[20:21], v[4:5]
	v_fma_f64 v[4:5], v[18:19], v[4:5], v[12:13]
	v_fma_f64 v[6:7], v[18:19], v[6:7], -v[16:17]
	buffer_load_dword v18, off, s[36:39], 0 offset:64 ; 4-byte Folded Reload
	buffer_load_dword v19, off, s[36:39], 0 offset:68 ; 4-byte Folded Reload
	buffer_load_dword v20, off, s[36:39], 0 offset:72 ; 4-byte Folded Reload
	buffer_load_dword v21, off, s[36:39], 0 offset:76 ; 4-byte Folded Reload
	v_mov_b32_e32 v12, s4
	v_addc_co_u32_e32 v15, vcc, v15, v12, vcc
	global_store_dwordx4 v[14:15], v[0:3], off
	v_add_co_u32_e32 v14, vcc, s5, v14
	v_mul_f64 v[0:1], v[4:5], s[2:3]
	v_mul_f64 v[2:3], v[6:7], s[2:3]
	ds_read_b128 v[4:7], v99 offset:41600
	s_waitcnt vmcnt(1) lgkmcnt(1)
	v_mul_f64 v[12:13], v[20:21], v[10:11]
	v_mul_f64 v[16:17], v[20:21], v[8:9]
	v_fma_f64 v[8:9], v[18:19], v[8:9], v[12:13]
	v_fma_f64 v[10:11], v[18:19], v[10:11], -v[16:17]
	buffer_load_dword v19, off, s[36:39], 0 offset:176 ; 4-byte Folded Reload
	buffer_load_dword v20, off, s[36:39], 0 offset:180 ; 4-byte Folded Reload
	buffer_load_dword v21, off, s[36:39], 0 offset:184 ; 4-byte Folded Reload
	buffer_load_dword v22, off, s[36:39], 0 offset:188 ; 4-byte Folded Reload
	v_mov_b32_e32 v16, s4
	v_addc_co_u32_e32 v15, vcc, v15, v16, vcc
	global_store_dwordx4 v[14:15], v[0:3], off
	v_add_co_u32_e32 v18, vcc, s5, v14
	v_mul_f64 v[0:1], v[8:9], s[2:3]
	v_mul_f64 v[2:3], v[10:11], s[2:3]
	ds_read_b128 v[8:11], v99 offset:48000
	buffer_load_dword v24, off, s[36:39], 0 offset:144 ; 4-byte Folded Reload
	buffer_load_dword v25, off, s[36:39], 0 offset:148 ; 4-byte Folded Reload
	buffer_load_dword v26, off, s[36:39], 0 offset:152 ; 4-byte Folded Reload
	buffer_load_dword v27, off, s[36:39], 0 offset:156 ; 4-byte Folded Reload
	s_waitcnt vmcnt(5) lgkmcnt(1)
	v_mul_f64 v[12:13], v[21:22], v[6:7]
	v_mul_f64 v[16:17], v[21:22], v[4:5]
	v_fma_f64 v[4:5], v[19:20], v[4:5], v[12:13]
	v_fma_f64 v[6:7], v[19:20], v[6:7], -v[16:17]
	v_mov_b32_e32 v12, s4
	v_addc_co_u32_e32 v19, vcc, v15, v12, vcc
	s_waitcnt vmcnt(0) lgkmcnt(0)
	v_mul_f64 v[20:21], v[26:27], v[10:11]
	v_mul_f64 v[22:23], v[26:27], v[8:9]
	global_store_dwordx4 v[18:19], v[0:3], off
	v_mul_f64 v[13:14], v[4:5], s[2:3]
	v_mul_f64 v[15:16], v[6:7], s[2:3]
	v_add_co_u32_e32 v4, vcc, s5, v18
	v_mov_b32_e32 v5, s4
	v_addc_co_u32_e32 v5, vcc, v19, v5, vcc
	v_fma_f64 v[17:18], v[24:25], v[8:9], v[20:21]
	v_fma_f64 v[20:21], v[24:25], v[10:11], -v[22:23]
	global_store_dwordx4 v[4:5], v[13:16], off
	ds_read_b128 v[0:3], v99 offset:54400
	ds_read_b128 v[6:9], v99 offset:60800
	buffer_load_dword v10, off, s[36:39], 0 offset:16 ; 4-byte Folded Reload
	buffer_load_dword v11, off, s[36:39], 0 offset:20 ; 4-byte Folded Reload
	;; [unrolled: 1-line block ×4, first 2 shown]
	buffer_load_dword v26, off, s[36:39], 0 ; 4-byte Folded Reload
	buffer_load_dword v27, off, s[36:39], 0 offset:4 ; 4-byte Folded Reload
	buffer_load_dword v28, off, s[36:39], 0 offset:8 ; 4-byte Folded Reload
	;; [unrolled: 1-line block ×3, first 2 shown]
	s_waitcnt vmcnt(4) lgkmcnt(1)
	v_mul_f64 v[14:15], v[12:13], v[2:3]
	v_mul_f64 v[22:23], v[12:13], v[0:1]
	v_mov_b32_e32 v25, v11
	v_mov_b32_e32 v24, v10
	v_mul_f64 v[10:11], v[17:18], s[2:3]
	s_waitcnt vmcnt(0) lgkmcnt(0)
	v_mul_f64 v[16:17], v[28:29], v[8:9]
	v_mul_f64 v[18:19], v[28:29], v[6:7]
	;; [unrolled: 1-line block ×3, first 2 shown]
	v_fma_f64 v[0:1], v[24:25], v[0:1], v[14:15]
	v_fma_f64 v[2:3], v[24:25], v[2:3], -v[22:23]
	v_add_co_u32_e32 v20, vcc, s5, v4
	v_mov_b32_e32 v4, s4
	v_addc_co_u32_e32 v21, vcc, v5, v4, vcc
	v_fma_f64 v[4:5], v[26:27], v[6:7], v[16:17]
	v_fma_f64 v[6:7], v[26:27], v[8:9], -v[18:19]
	v_mul_f64 v[0:1], v[0:1], s[2:3]
	v_mul_f64 v[2:3], v[2:3], s[2:3]
	v_add_co_u32_e32 v8, vcc, s5, v20
	v_mov_b32_e32 v9, s4
	v_addc_co_u32_e32 v9, vcc, v21, v9, vcc
	v_mul_f64 v[4:5], v[4:5], s[2:3]
	v_mul_f64 v[6:7], v[6:7], s[2:3]
	global_store_dwordx4 v[20:21], v[10:13], off
	global_store_dwordx4 v[8:9], v[0:3], off
	s_nop 0
	v_add_co_u32_e32 v0, vcc, s5, v8
	v_mov_b32_e32 v1, s4
	v_addc_co_u32_e32 v1, vcc, v9, v1, vcc
	global_store_dwordx4 v[0:1], v[4:7], off
.LBB0_2:
	s_endpgm
	.section	.rodata,"a",@progbits
	.p2align	6, 0x0
	.amdhsa_kernel bluestein_single_fwd_len4000_dim1_dp_op_CI_CI
		.amdhsa_group_segment_fixed_size 64000
		.amdhsa_private_segment_fixed_size 608
		.amdhsa_kernarg_size 104
		.amdhsa_user_sgpr_count 6
		.amdhsa_user_sgpr_private_segment_buffer 1
		.amdhsa_user_sgpr_dispatch_ptr 0
		.amdhsa_user_sgpr_queue_ptr 0
		.amdhsa_user_sgpr_kernarg_segment_ptr 1
		.amdhsa_user_sgpr_dispatch_id 0
		.amdhsa_user_sgpr_flat_scratch_init 0
		.amdhsa_user_sgpr_private_segment_size 0
		.amdhsa_uses_dynamic_stack 0
		.amdhsa_system_sgpr_private_segment_wavefront_offset 1
		.amdhsa_system_sgpr_workgroup_id_x 1
		.amdhsa_system_sgpr_workgroup_id_y 0
		.amdhsa_system_sgpr_workgroup_id_z 0
		.amdhsa_system_sgpr_workgroup_info 0
		.amdhsa_system_vgpr_workitem_id 0
		.amdhsa_next_free_vgpr 256
		.amdhsa_next_free_sgpr 40
		.amdhsa_reserve_vcc 1
		.amdhsa_reserve_flat_scratch 0
		.amdhsa_float_round_mode_32 0
		.amdhsa_float_round_mode_16_64 0
		.amdhsa_float_denorm_mode_32 3
		.amdhsa_float_denorm_mode_16_64 3
		.amdhsa_dx10_clamp 1
		.amdhsa_ieee_mode 1
		.amdhsa_fp16_overflow 0
		.amdhsa_exception_fp_ieee_invalid_op 0
		.amdhsa_exception_fp_denorm_src 0
		.amdhsa_exception_fp_ieee_div_zero 0
		.amdhsa_exception_fp_ieee_overflow 0
		.amdhsa_exception_fp_ieee_underflow 0
		.amdhsa_exception_fp_ieee_inexact 0
		.amdhsa_exception_int_div_zero 0
	.end_amdhsa_kernel
	.text
.Lfunc_end0:
	.size	bluestein_single_fwd_len4000_dim1_dp_op_CI_CI, .Lfunc_end0-bluestein_single_fwd_len4000_dim1_dp_op_CI_CI
                                        ; -- End function
	.section	.AMDGPU.csdata,"",@progbits
; Kernel info:
; codeLenInByte = 30660
; NumSgprs: 44
; NumVgprs: 256
; ScratchSize: 608
; MemoryBound: 0
; FloatMode: 240
; IeeeMode: 1
; LDSByteSize: 64000 bytes/workgroup (compile time only)
; SGPRBlocks: 5
; VGPRBlocks: 63
; NumSGPRsForWavesPerEU: 44
; NumVGPRsForWavesPerEU: 256
; Occupancy: 1
; WaveLimiterHint : 1
; COMPUTE_PGM_RSRC2:SCRATCH_EN: 1
; COMPUTE_PGM_RSRC2:USER_SGPR: 6
; COMPUTE_PGM_RSRC2:TRAP_HANDLER: 0
; COMPUTE_PGM_RSRC2:TGID_X_EN: 1
; COMPUTE_PGM_RSRC2:TGID_Y_EN: 0
; COMPUTE_PGM_RSRC2:TGID_Z_EN: 0
; COMPUTE_PGM_RSRC2:TIDIG_COMP_CNT: 0
	.type	__hip_cuid_6630596f1e2d12d1,@object ; @__hip_cuid_6630596f1e2d12d1
	.section	.bss,"aw",@nobits
	.globl	__hip_cuid_6630596f1e2d12d1
__hip_cuid_6630596f1e2d12d1:
	.byte	0                               ; 0x0
	.size	__hip_cuid_6630596f1e2d12d1, 1

	.ident	"AMD clang version 19.0.0git (https://github.com/RadeonOpenCompute/llvm-project roc-6.4.0 25133 c7fe45cf4b819c5991fe208aaa96edf142730f1d)"
	.section	".note.GNU-stack","",@progbits
	.addrsig
	.addrsig_sym __hip_cuid_6630596f1e2d12d1
	.amdgpu_metadata
---
amdhsa.kernels:
  - .args:
      - .actual_access:  read_only
        .address_space:  global
        .offset:         0
        .size:           8
        .value_kind:     global_buffer
      - .actual_access:  read_only
        .address_space:  global
        .offset:         8
        .size:           8
        .value_kind:     global_buffer
      - .actual_access:  read_only
        .address_space:  global
        .offset:         16
        .size:           8
        .value_kind:     global_buffer
      - .actual_access:  read_only
        .address_space:  global
        .offset:         24
        .size:           8
        .value_kind:     global_buffer
      - .actual_access:  read_only
        .address_space:  global
        .offset:         32
        .size:           8
        .value_kind:     global_buffer
      - .offset:         40
        .size:           8
        .value_kind:     by_value
      - .address_space:  global
        .offset:         48
        .size:           8
        .value_kind:     global_buffer
      - .address_space:  global
        .offset:         56
        .size:           8
        .value_kind:     global_buffer
      - .address_space:  global
        .offset:         64
        .size:           8
        .value_kind:     global_buffer
      - .address_space:  global
        .offset:         72
        .size:           8
        .value_kind:     global_buffer
      - .offset:         80
        .size:           4
        .value_kind:     by_value
      - .address_space:  global
        .offset:         88
        .size:           8
        .value_kind:     global_buffer
      - .address_space:  global
        .offset:         96
        .size:           8
        .value_kind:     global_buffer
    .group_segment_fixed_size: 64000
    .kernarg_segment_align: 8
    .kernarg_segment_size: 104
    .language:       OpenCL C
    .language_version:
      - 2
      - 0
    .max_flat_workgroup_size: 200
    .name:           bluestein_single_fwd_len4000_dim1_dp_op_CI_CI
    .private_segment_fixed_size: 608
    .sgpr_count:     44
    .sgpr_spill_count: 0
    .symbol:         bluestein_single_fwd_len4000_dim1_dp_op_CI_CI.kd
    .uniform_work_group_size: 1
    .uses_dynamic_stack: false
    .vgpr_count:     256
    .vgpr_spill_count: 151
    .wavefront_size: 64
amdhsa.target:   amdgcn-amd-amdhsa--gfx906
amdhsa.version:
  - 1
  - 2
...

	.end_amdgpu_metadata
